;; amdgpu-corpus repo=ROCm/rocFFT kind=compiled arch=gfx950 opt=O3
	.text
	.amdgcn_target "amdgcn-amd-amdhsa--gfx950"
	.amdhsa_code_object_version 6
	.protected	fft_rtc_fwd_len1088_factors_17_4_4_2_2_wgs_204_tpt_68_halfLds_sp_ip_CI_unitstride_sbrr_C2R_dirReg ; -- Begin function fft_rtc_fwd_len1088_factors_17_4_4_2_2_wgs_204_tpt_68_halfLds_sp_ip_CI_unitstride_sbrr_C2R_dirReg
	.globl	fft_rtc_fwd_len1088_factors_17_4_4_2_2_wgs_204_tpt_68_halfLds_sp_ip_CI_unitstride_sbrr_C2R_dirReg
	.p2align	8
	.type	fft_rtc_fwd_len1088_factors_17_4_4_2_2_wgs_204_tpt_68_halfLds_sp_ip_CI_unitstride_sbrr_C2R_dirReg,@function
fft_rtc_fwd_len1088_factors_17_4_4_2_2_wgs_204_tpt_68_halfLds_sp_ip_CI_unitstride_sbrr_C2R_dirReg: ; @fft_rtc_fwd_len1088_factors_17_4_4_2_2_wgs_204_tpt_68_halfLds_sp_ip_CI_unitstride_sbrr_C2R_dirReg
; %bb.0:
	s_load_dwordx2 s[8:9], s[0:1], 0x50
	s_load_dwordx4 s[4:7], s[0:1], 0x0
	s_load_dwordx2 s[10:11], s[0:1], 0x18
	v_mul_u32_u24_e32 v1, 0x3c4, v0
	v_lshrrev_b32_e32 v2, 16, v1
	v_mad_u64_u32 v[2:3], s[2:3], s2, 3, v[2:3]
	v_mov_b32_e32 v6, 0
	v_mov_b32_e32 v3, v6
	s_waitcnt lgkmcnt(0)
	v_cmp_lt_u64_e64 s[2:3], s[6:7], 2
	s_and_b64 vcc, exec, s[2:3]
	v_mov_b64_e32 v[4:5], 0
	v_mov_b64_e32 v[10:11], v[2:3]
	s_cbranch_vccnz .LBB0_8
; %bb.1:
	s_load_dwordx2 s[2:3], s[0:1], 0x10
	s_add_u32 s12, s10, 8
	s_addc_u32 s13, s11, 0
	s_mov_b64 s[14:15], 1
	v_mov_b64_e32 v[4:5], 0
	s_waitcnt lgkmcnt(0)
	s_add_u32 s16, s2, 8
	s_addc_u32 s17, s3, 0
	v_mov_b64_e32 v[8:9], v[2:3]
.LBB0_2:                                ; =>This Inner Loop Header: Depth=1
	s_load_dwordx2 s[18:19], s[16:17], 0x0
                                        ; implicit-def: $vgpr10_vgpr11
	s_waitcnt lgkmcnt(0)
	v_or_b32_e32 v7, s19, v9
	v_cmp_ne_u64_e32 vcc, 0, v[6:7]
	s_and_saveexec_b64 s[2:3], vcc
	s_xor_b64 s[20:21], exec, s[2:3]
	s_cbranch_execz .LBB0_4
; %bb.3:                                ;   in Loop: Header=BB0_2 Depth=1
	v_cvt_f32_u32_e32 v1, s18
	v_cvt_f32_u32_e32 v3, s19
	s_sub_u32 s2, 0, s18
	s_subb_u32 s3, 0, s19
	v_fmac_f32_e32 v1, 0x4f800000, v3
	v_rcp_f32_e32 v1, v1
	s_nop 0
	v_mul_f32_e32 v1, 0x5f7ffffc, v1
	v_mul_f32_e32 v3, 0x2f800000, v1
	v_trunc_f32_e32 v3, v3
	v_fmac_f32_e32 v1, 0xcf800000, v3
	v_cvt_u32_f32_e32 v3, v3
	v_cvt_u32_f32_e32 v1, v1
	v_mul_lo_u32 v7, s2, v3
	v_mul_hi_u32 v10, s2, v1
	v_mul_lo_u32 v11, s3, v1
	v_add_u32_e32 v7, v10, v7
	v_mul_lo_u32 v14, s2, v1
	v_add_u32_e32 v7, v7, v11
	v_mul_hi_u32 v10, v1, v14
	v_mul_hi_u32 v13, v1, v7
	v_mul_lo_u32 v12, v1, v7
	v_mov_b32_e32 v11, v6
	v_lshl_add_u64 v[10:11], v[10:11], 0, v[12:13]
	v_mul_hi_u32 v13, v3, v14
	v_mul_lo_u32 v14, v3, v14
	v_add_co_u32_e32 v10, vcc, v10, v14
	v_mul_hi_u32 v12, v3, v7
	s_nop 0
	v_addc_co_u32_e32 v10, vcc, v11, v13, vcc
	v_mov_b32_e32 v11, v6
	s_nop 0
	v_addc_co_u32_e32 v13, vcc, 0, v12, vcc
	v_mul_lo_u32 v12, v3, v7
	v_lshl_add_u64 v[10:11], v[10:11], 0, v[12:13]
	v_add_co_u32_e32 v1, vcc, v1, v10
	v_mul_hi_u32 v10, s2, v1
	s_nop 0
	v_addc_co_u32_e32 v3, vcc, v3, v11, vcc
	v_mul_lo_u32 v7, s2, v3
	v_add_u32_e32 v7, v10, v7
	v_mul_lo_u32 v10, s3, v1
	v_add_u32_e32 v7, v7, v10
	v_mul_lo_u32 v12, s2, v1
	v_mul_hi_u32 v15, v3, v12
	v_mul_lo_u32 v16, v3, v12
	v_mul_hi_u32 v11, v1, v7
	;; [unrolled: 2-line block ×3, first 2 shown]
	v_mov_b32_e32 v13, v6
	v_lshl_add_u64 v[10:11], v[12:13], 0, v[10:11]
	v_add_co_u32_e32 v10, vcc, v10, v16
	v_mul_hi_u32 v14, v3, v7
	s_nop 0
	v_addc_co_u32_e32 v10, vcc, v11, v15, vcc
	v_mul_lo_u32 v12, v3, v7
	s_nop 0
	v_addc_co_u32_e32 v13, vcc, 0, v14, vcc
	v_mov_b32_e32 v11, v6
	v_lshl_add_u64 v[10:11], v[10:11], 0, v[12:13]
	v_add_co_u32_e32 v1, vcc, v1, v10
	v_mul_hi_u32 v12, v8, v1
	s_nop 0
	v_addc_co_u32_e32 v3, vcc, v3, v11, vcc
	v_mad_u64_u32 v[10:11], s[2:3], v8, v3, 0
	v_mov_b32_e32 v13, v6
	v_lshl_add_u64 v[10:11], v[12:13], 0, v[10:11]
	v_mad_u64_u32 v[14:15], s[2:3], v9, v1, 0
	v_add_co_u32_e32 v1, vcc, v10, v14
	v_mad_u64_u32 v[12:13], s[2:3], v9, v3, 0
	s_nop 0
	v_addc_co_u32_e32 v10, vcc, v11, v15, vcc
	v_mov_b32_e32 v11, v6
	s_nop 0
	v_addc_co_u32_e32 v13, vcc, 0, v13, vcc
	v_lshl_add_u64 v[10:11], v[10:11], 0, v[12:13]
	v_mul_lo_u32 v1, s19, v10
	v_mul_lo_u32 v3, s18, v11
	v_mad_u64_u32 v[12:13], s[2:3], s18, v10, 0
	v_add3_u32 v1, v13, v3, v1
	v_sub_u32_e32 v3, v9, v1
	v_mov_b32_e32 v7, s19
	v_sub_co_u32_e32 v16, vcc, v8, v12
	v_lshl_add_u64 v[14:15], v[10:11], 0, 1
	s_nop 0
	v_subb_co_u32_e64 v3, s[2:3], v3, v7, vcc
	v_subrev_co_u32_e64 v7, s[2:3], s18, v16
	v_subb_co_u32_e32 v1, vcc, v9, v1, vcc
	s_nop 0
	v_subbrev_co_u32_e64 v3, s[2:3], 0, v3, s[2:3]
	v_cmp_le_u32_e64 s[2:3], s19, v3
	v_cmp_le_u32_e32 vcc, s19, v1
	s_nop 0
	v_cndmask_b32_e64 v12, 0, -1, s[2:3]
	v_cmp_le_u32_e64 s[2:3], s18, v7
	s_nop 1
	v_cndmask_b32_e64 v7, 0, -1, s[2:3]
	v_cmp_eq_u32_e64 s[2:3], s19, v3
	s_nop 1
	v_cndmask_b32_e64 v3, v12, v7, s[2:3]
	v_lshl_add_u64 v[12:13], v[10:11], 0, 2
	v_cmp_ne_u32_e64 s[2:3], 0, v3
	v_cndmask_b32_e64 v7, 0, -1, vcc
	v_cmp_le_u32_e32 vcc, s18, v16
	v_cndmask_b32_e64 v3, v15, v13, s[2:3]
	s_nop 0
	v_cndmask_b32_e64 v13, 0, -1, vcc
	v_cmp_eq_u32_e32 vcc, s19, v1
	s_nop 1
	v_cndmask_b32_e32 v1, v7, v13, vcc
	v_cmp_ne_u32_e32 vcc, 0, v1
	v_cndmask_b32_e64 v1, v14, v12, s[2:3]
	s_nop 0
	v_cndmask_b32_e32 v11, v11, v3, vcc
	v_cndmask_b32_e32 v10, v10, v1, vcc
.LBB0_4:                                ;   in Loop: Header=BB0_2 Depth=1
	s_andn2_saveexec_b64 s[2:3], s[20:21]
	s_cbranch_execz .LBB0_6
; %bb.5:                                ;   in Loop: Header=BB0_2 Depth=1
	v_cvt_f32_u32_e32 v1, s18
	s_sub_i32 s20, 0, s18
	v_mov_b32_e32 v11, v6
	v_rcp_iflag_f32_e32 v1, v1
	s_nop 0
	v_mul_f32_e32 v1, 0x4f7ffffe, v1
	v_cvt_u32_f32_e32 v1, v1
	v_mul_lo_u32 v3, s20, v1
	v_mul_hi_u32 v3, v1, v3
	v_add_u32_e32 v1, v1, v3
	v_mul_hi_u32 v1, v8, v1
	v_mul_lo_u32 v3, v1, s18
	v_sub_u32_e32 v3, v8, v3
	v_add_u32_e32 v7, 1, v1
	v_subrev_u32_e32 v10, s18, v3
	v_cmp_le_u32_e32 vcc, s18, v3
	s_nop 1
	v_cndmask_b32_e32 v3, v3, v10, vcc
	v_cndmask_b32_e32 v1, v1, v7, vcc
	v_add_u32_e32 v7, 1, v1
	v_cmp_le_u32_e32 vcc, s18, v3
	s_nop 1
	v_cndmask_b32_e32 v10, v1, v7, vcc
.LBB0_6:                                ;   in Loop: Header=BB0_2 Depth=1
	s_or_b64 exec, exec, s[2:3]
	v_mad_u64_u32 v[12:13], s[2:3], v10, s18, 0
	s_load_dwordx2 s[2:3], s[12:13], 0x0
	s_add_u32 s14, s14, 1
	v_mul_lo_u32 v1, v11, s18
	v_mul_lo_u32 v3, v10, s19
	s_addc_u32 s15, s15, 0
	v_add3_u32 v1, v13, v3, v1
	v_sub_co_u32_e32 v3, vcc, v8, v12
	s_add_u32 s12, s12, 8
	s_nop 0
	v_subb_co_u32_e32 v1, vcc, v9, v1, vcc
	s_addc_u32 s13, s13, 0
	v_mov_b64_e32 v[8:9], s[6:7]
	s_waitcnt lgkmcnt(0)
	v_mul_lo_u32 v1, s2, v1
	v_mul_lo_u32 v7, s3, v3
	v_mad_u64_u32 v[4:5], s[2:3], s2, v3, v[4:5]
	s_add_u32 s16, s16, 8
	v_cmp_ge_u64_e32 vcc, s[14:15], v[8:9]
	v_add3_u32 v5, v7, v5, v1
	s_addc_u32 s17, s17, 0
	s_cbranch_vccnz .LBB0_8
; %bb.7:                                ;   in Loop: Header=BB0_2 Depth=1
	v_mov_b64_e32 v[8:9], v[10:11]
	s_branch .LBB0_2
.LBB0_8:
	s_lshl_b64 s[2:3], s[6:7], 3
	s_add_u32 s2, s10, s2
	s_addc_u32 s3, s11, s3
	s_load_dwordx2 s[6:7], s[2:3], 0x0
	s_load_dwordx2 s[10:11], s[0:1], 0x20
	s_mov_b32 s2, 0x3c3c3c4
	v_mov_b32_e32 v87, 0
	s_waitcnt lgkmcnt(0)
	v_mad_u64_u32 v[4:5], s[0:1], s6, v10, v[4:5]
	v_mul_lo_u32 v1, s6, v11
	v_mul_lo_u32 v3, s7, v10
	s_mov_b32 s0, 0xaaaaaaab
	v_add3_u32 v5, v3, v5, v1
	v_mul_hi_u32 v1, v2, s0
	v_lshrrev_b32_e32 v1, 1, v1
	v_lshl_add_u32 v1, v1, 1, v1
	v_sub_u32_e32 v1, v2, v1
	v_mul_u32_u24_e32 v2, 0x441, v1
	v_mul_hi_u32 v1, v0, s2
	v_mul_u32_u24_e32 v1, 0x44, v1
	v_sub_u32_e32 v86, v0, v1
	v_cmp_gt_u64_e64 s[0:1], s[10:11], v[10:11]
	v_lshl_add_u64 v[82:83], v[4:5], 3, s[8:9]
	v_lshlrev_b32_e32 v85, 3, v2
	v_mov_b32_e32 v34, v86
	s_and_saveexec_b64 s[2:3], s[0:1]
	s_cbranch_execz .LBB0_12
; %bb.9:
	v_lshl_add_u64 v[0:1], v[86:87], 3, v[82:83]
	s_movk_i32 s6, 0x1000
	global_load_dwordx2 v[4:5], v[0:1], off
	global_load_dwordx2 v[6:7], v[0:1], off offset:544
	global_load_dwordx2 v[8:9], v[0:1], off offset:1088
	;; [unrolled: 1-line block ×7, first 2 shown]
	v_add_co_u32_e32 v0, vcc, s6, v0
	s_movk_i32 s6, 0x43
	s_nop 0
	v_addc_co_u32_e32 v1, vcc, 0, v1, vcc
	global_load_dwordx2 v[20:21], v[0:1], off offset:256
	global_load_dwordx2 v[22:23], v[0:1], off offset:800
	;; [unrolled: 1-line block ×8, first 2 shown]
	v_lshlrev_b32_e32 v0, 3, v86
	v_add3_u32 v3, 0, v85, v0
	v_add_u32_e32 v0, 0x800, v3
	v_add_u32_e32 v1, 0x1000, v3
	v_cmp_eq_u32_e32 vcc, s6, v86
	v_add_u32_e32 v32, 0x1800, v3
	s_waitcnt vmcnt(14)
	ds_write2_b64 v3, v[4:5], v[6:7] offset1:68
	s_waitcnt vmcnt(12)
	ds_write2_b64 v3, v[8:9], v[10:11] offset0:136 offset1:204
	s_waitcnt vmcnt(10)
	ds_write2_b64 v0, v[12:13], v[14:15] offset0:16 offset1:84
	;; [unrolled: 2-line block ×7, first 2 shown]
	v_mov_b64_e32 v[0:1], v[86:87]
	s_and_saveexec_b64 s[6:7], vcc
	s_cbranch_execz .LBB0_11
; %bb.10:
	v_add_co_u32_e32 v0, vcc, 0x2000, v82
	v_mov_b32_e32 v86, 0x43
	s_nop 0
	v_addc_co_u32_e32 v1, vcc, 0, v83, vcc
	global_load_dwordx2 v[0:1], v[0:1], off offset:512
	s_waitcnt vmcnt(0)
	ds_write_b64 v3, v[0:1] offset:8168
	v_mov_b64_e32 v[0:1], 0x43
.LBB0_11:
	s_or_b64 exec, exec, s[6:7]
	v_mov_b32_e32 v34, v86
	v_mov_b64_e32 v[86:87], v[0:1]
.LBB0_12:
	s_or_b64 exec, exec, s[2:3]
	v_lshl_add_u32 v84, v2, 3, 0
	v_lshlrev_b32_e32 v0, 3, v34
	v_add_u32_e32 v201, v84, v0
	s_waitcnt lgkmcnt(0)
	s_barrier
	v_sub_u32_e32 v3, v84, v0
	ds_read_b32 v1, v201
	ds_read_b32 v4, v3 offset:8704
	s_add_u32 s2, s4, 0x2178
	s_addc_u32 s3, s5, 0
	v_cmp_ne_u32_e32 vcc, 0, v34
	s_waitcnt lgkmcnt(0)
	v_add_f32_e32 v0, v4, v1
	v_sub_f32_e32 v1, v1, v4
	s_and_saveexec_b64 s[6:7], vcc
	s_xor_b64 s[6:7], exec, s[6:7]
	s_cbranch_execz .LBB0_14
; %bb.13:
	v_lshl_add_u64 v[4:5], v[86:87], 3, s[2:3]
	global_load_dwordx2 v[4:5], v[4:5], off
	ds_read_b32 v9, v3 offset:8708
	ds_read_b32 v10, v201 offset:4
	v_mov_b32_e32 v8, v1
	v_mov_b32_e32 v7, v1
	s_waitcnt lgkmcnt(0)
	v_add_f32_e32 v6, v9, v10
	v_sub_f32_e32 v14, v10, v9
	v_mov_b32_e32 v9, v6
	v_mov_b32_e32 v1, v14
	s_waitcnt vmcnt(0)
	v_pk_mul_f32 v[10:11], v[8:9], v[4:5] op_sel:[0,1]
	v_pk_fma_f32 v[8:9], v[8:9], v[4:5], v[0:1] op_sel:[0,1,0]
	v_mov_b32_e32 v1, v11
	v_mov_b32_e32 v11, v14
	v_pk_fma_f32 v[12:13], v[4:5], v[6:7], v[8:9] neg_lo:[1,0,0] neg_hi:[1,0,0]
	v_pk_fma_f32 v[8:9], v[4:5], v[6:7], v[8:9] op_sel_hi:[0,1,1]
	v_pk_add_f32 v[0:1], v[0:1], v[10:11] neg_lo:[0,1] neg_hi:[0,1]
	v_mov_b32_e32 v13, v9
	v_pk_fma_f32 v[0:1], v[4:5], v[6:7], v[0:1] op_sel_hi:[0,1,1]
	ds_write_b64 v201, v[12:13]
	ds_write_b64 v3, v[0:1] offset:8704
                                        ; implicit-def: $vgpr0
.LBB0_14:
	s_andn2_saveexec_b64 s[6:7], s[6:7]
	s_cbranch_execz .LBB0_16
; %bb.15:
	ds_write_b64 v201, v[0:1]
	ds_read_b64 v[0:1], v84 offset:4352
	s_mov_b32 s8, 2.0
	s_mov_b32 s9, -2.0
	s_waitcnt lgkmcnt(0)
	v_pk_mul_f32 v[0:1], v[0:1], s[8:9]
	ds_write_b64 v84, v[0:1] offset:4352
.LBB0_16:
	s_or_b64 exec, exec, s[6:7]
	v_mov_b32_e32 v35, 0
	v_lshl_add_u64 v[0:1], v[34:35], 3, s[2:3]
	global_load_dwordx2 v[4:5], v[0:1], off offset:544
	global_load_dwordx2 v[6:7], v[0:1], off offset:1088
	;; [unrolled: 1-line block ×4, first 2 shown]
	ds_read_b64 v[12:13], v3 offset:8160
	ds_read_b64 v[14:15], v201 offset:544
	global_load_dwordx2 v[16:17], v[0:1], off offset:2720
	v_lshl_add_u32 v88, v34, 3, 0
	v_lshl_add_u32 v200, v2, 3, v88
	v_cmp_gt_u32_e32 vcc, 64, v34
	s_waitcnt lgkmcnt(0)
	v_pk_add_f32 v[18:19], v[14:15], v[12:13]
	v_pk_add_f32 v[12:13], v[14:15], v[12:13] neg_lo:[0,1] neg_hi:[0,1]
	v_mov_b32_e32 v14, v19
	v_mov_b32_e32 v15, v12
	;; [unrolled: 1-line block ×3, first 2 shown]
	s_waitcnt vmcnt(4)
	v_pk_mul_f32 v[20:21], v[14:15], v[4:5] op_sel:[0,1]
	s_nop 0
	v_pk_add_f32 v[22:23], v[18:19], v[20:21] op_sel:[0,1] op_sel_hi:[1,0]
	v_mov_b32_e32 v19, v20
	v_mov_b32_e32 v12, v21
	v_pk_fma_f32 v[20:21], v[4:5], v[14:15], v[22:23] neg_lo:[1,0,0] neg_hi:[1,0,0]
	v_pk_fma_f32 v[22:23], v[4:5], v[14:15], v[22:23] op_sel_hi:[0,1,1]
	v_pk_add_f32 v[12:13], v[18:19], v[12:13] neg_lo:[0,1] neg_hi:[0,1]
	v_mov_b32_e32 v21, v23
	v_pk_fma_f32 v[4:5], v[4:5], v[14:15], v[12:13] op_sel_hi:[0,1,1]
	ds_write_b64 v201, v[20:21] offset:544
	ds_write_b64 v3, v[4:5] offset:8160
	ds_read_b64 v[4:5], v3 offset:7616
	ds_read_b64 v[12:13], v201 offset:1088
	global_load_dwordx2 v[14:15], v[0:1], off offset:3264
	s_waitcnt lgkmcnt(0)
	v_pk_add_f32 v[18:19], v[12:13], v[4:5]
	v_pk_add_f32 v[4:5], v[12:13], v[4:5] neg_lo:[0,1] neg_hi:[0,1]
	v_mov_b32_e32 v12, v19
	v_mov_b32_e32 v13, v4
	;; [unrolled: 1-line block ×3, first 2 shown]
	s_waitcnt vmcnt(4)
	v_pk_mul_f32 v[20:21], v[12:13], v[6:7] op_sel:[0,1]
	s_nop 0
	v_pk_add_f32 v[22:23], v[18:19], v[20:21] op_sel:[0,1] op_sel_hi:[1,0]
	v_mov_b32_e32 v19, v20
	v_mov_b32_e32 v4, v21
	v_pk_fma_f32 v[20:21], v[6:7], v[12:13], v[22:23] neg_lo:[1,0,0] neg_hi:[1,0,0]
	v_pk_fma_f32 v[22:23], v[6:7], v[12:13], v[22:23] op_sel_hi:[0,1,1]
	v_pk_add_f32 v[4:5], v[18:19], v[4:5] neg_lo:[0,1] neg_hi:[0,1]
	v_mov_b32_e32 v21, v23
	v_pk_fma_f32 v[4:5], v[6:7], v[12:13], v[4:5] op_sel_hi:[0,1,1]
	ds_write_b64 v201, v[20:21] offset:1088
	ds_write_b64 v3, v[4:5] offset:7616
	ds_read_b64 v[4:5], v3 offset:7072
	ds_read_b64 v[6:7], v201 offset:1632
	global_load_dwordx2 v[0:1], v[0:1], off offset:3808
	s_waitcnt lgkmcnt(0)
	v_pk_add_f32 v[12:13], v[6:7], v[4:5]
	v_pk_add_f32 v[4:5], v[6:7], v[4:5] neg_lo:[0,1] neg_hi:[0,1]
	v_mov_b32_e32 v6, v13
	v_mov_b32_e32 v7, v4
	v_mov_b32_e32 v13, v5
	s_waitcnt vmcnt(4)
	v_pk_mul_f32 v[18:19], v[6:7], v[8:9] op_sel:[0,1]
	s_nop 0
	v_pk_add_f32 v[20:21], v[12:13], v[18:19] op_sel:[0,1] op_sel_hi:[1,0]
	v_mov_b32_e32 v13, v18
	v_mov_b32_e32 v4, v19
	v_pk_fma_f32 v[18:19], v[8:9], v[6:7], v[20:21] neg_lo:[1,0,0] neg_hi:[1,0,0]
	v_pk_fma_f32 v[20:21], v[8:9], v[6:7], v[20:21] op_sel_hi:[0,1,1]
	v_pk_add_f32 v[4:5], v[12:13], v[4:5] neg_lo:[0,1] neg_hi:[0,1]
	v_mov_b32_e32 v19, v21
	v_pk_fma_f32 v[4:5], v[8:9], v[6:7], v[4:5] op_sel_hi:[0,1,1]
	ds_write_b64 v201, v[18:19] offset:1632
	ds_write_b64 v3, v[4:5] offset:7072
	ds_read_b64 v[4:5], v3 offset:6528
	ds_read_b64 v[6:7], v201 offset:2176
	s_waitcnt lgkmcnt(0)
	v_pk_add_f32 v[8:9], v[6:7], v[4:5]
	v_pk_add_f32 v[4:5], v[6:7], v[4:5] neg_lo:[0,1] neg_hi:[0,1]
	v_mov_b32_e32 v6, v9
	v_mov_b32_e32 v7, v4
	v_mov_b32_e32 v9, v5
	s_waitcnt vmcnt(3)
	v_pk_mul_f32 v[12:13], v[6:7], v[10:11] op_sel:[0,1]
	s_nop 0
	v_pk_add_f32 v[18:19], v[8:9], v[12:13] op_sel:[0,1] op_sel_hi:[1,0]
	v_mov_b32_e32 v9, v12
	v_mov_b32_e32 v4, v13
	v_pk_fma_f32 v[12:13], v[10:11], v[6:7], v[18:19] neg_lo:[1,0,0] neg_hi:[1,0,0]
	v_pk_fma_f32 v[18:19], v[10:11], v[6:7], v[18:19] op_sel_hi:[0,1,1]
	v_pk_add_f32 v[4:5], v[8:9], v[4:5] neg_lo:[0,1] neg_hi:[0,1]
	v_mov_b32_e32 v13, v19
	v_pk_fma_f32 v[4:5], v[10:11], v[6:7], v[4:5] op_sel_hi:[0,1,1]
	ds_write_b64 v201, v[12:13] offset:2176
	ds_write_b64 v3, v[4:5] offset:6528
	ds_read_b64 v[4:5], v3 offset:5984
	ds_read_b64 v[6:7], v201 offset:2720
	;; [unrolled: 21-line block ×4, first 2 shown]
	s_waitcnt lgkmcnt(0)
	v_pk_add_f32 v[8:9], v[6:7], v[4:5]
	v_pk_add_f32 v[4:5], v[6:7], v[4:5] neg_lo:[0,1] neg_hi:[0,1]
	v_mov_b32_e32 v6, v9
	v_mov_b32_e32 v7, v4
	;; [unrolled: 1-line block ×3, first 2 shown]
	s_waitcnt vmcnt(0)
	v_pk_mul_f32 v[10:11], v[6:7], v[0:1] op_sel:[0,1]
	s_nop 0
	v_pk_add_f32 v[12:13], v[8:9], v[10:11] op_sel:[0,1] op_sel_hi:[1,0]
	v_mov_b32_e32 v9, v10
	v_mov_b32_e32 v4, v11
	v_pk_fma_f32 v[10:11], v[0:1], v[6:7], v[12:13] neg_lo:[1,0,0] neg_hi:[1,0,0]
	v_pk_fma_f32 v[12:13], v[0:1], v[6:7], v[12:13] op_sel_hi:[0,1,1]
	v_pk_add_f32 v[4:5], v[8:9], v[4:5] neg_lo:[0,1] neg_hi:[0,1]
	v_mov_b32_e32 v11, v13
	v_pk_fma_f32 v[0:1], v[0:1], v[6:7], v[4:5] op_sel_hi:[0,1,1]
	ds_write_b64 v201, v[10:11] offset:3808
	ds_write_b64 v3, v[0:1] offset:4896
	s_waitcnt lgkmcnt(0)
	s_barrier
	s_barrier
	ds_read_b64 v[38:39], v201
	ds_read2st64_b64 v[28:31], v200 offset0:1 offset1:2
	ds_read2st64_b64 v[24:27], v200 offset0:3 offset1:4
	ds_read2st64_b64 v[20:23], v200 offset0:5 offset1:6
	ds_read2st64_b64 v[16:19], v200 offset0:7 offset1:8
	ds_read2st64_b64 v[12:15], v200 offset0:9 offset1:10
	ds_read2st64_b64 v[8:11], v200 offset0:11 offset1:12
	ds_read2st64_b64 v[4:7], v200 offset0:13 offset1:14
	ds_read2st64_b64 v[0:3], v200 offset0:15 offset1:16
	s_waitcnt lgkmcnt(0)
	s_barrier
	s_and_saveexec_b64 s[2:3], vcc
	s_cbranch_execz .LBB0_18
; %bb.17:
	v_pk_add_f32 v[48:49], v[2:3], v[28:29]
	v_pk_add_f32 v[50:51], v[28:29], v[2:3] neg_lo:[0,1] neg_hi:[0,1]
	v_pk_add_f32 v[28:29], v[38:39], v[28:29]
	v_pk_add_f32 v[46:47], v[0:1], v[30:31]
	v_pk_add_f32 v[52:53], v[30:31], v[0:1] neg_lo:[0,1] neg_hi:[0,1]
	v_pk_add_f32 v[30:31], v[28:29], v[30:31]
	;; [unrolled: 3-line block ×7, first 2 shown]
	v_pk_add_f32 v[20:21], v[12:13], v[18:19]
	v_pk_add_f32 v[16:17], v[16:17], v[18:19]
	v_pk_add_f32 v[62:63], v[18:19], v[12:13] neg_lo:[0,1] neg_hi:[0,1]
	v_pk_add_f32 v[12:13], v[16:17], v[12:13]
	s_mov_b32 s38, 0x3f6eb680
	v_pk_add_f32 v[12:13], v[12:13], v[14:15]
	v_mov_b32_e32 v96, v48
	v_pk_add_f32 v[8:9], v[12:13], v[8:9]
	v_mov_b32_e32 v97, v50
	v_pk_add_f32 v[8:9], v[8:9], v[10:11]
	s_mov_b32 s39, 0xbeb8f4ab
	v_pk_add_f32 v[4:5], v[8:9], v[4:5]
	s_mov_b32 s46, 0x3f3d2fb0
	v_pk_add_f32 v[4:5], v[4:5], v[6:7]
	v_mov_b32_e32 v48, v51
	v_pk_add_f32 v[0:1], v[4:5], v[0:1]
	s_mov_b32 s6, s39
	v_pk_add_f32 v[64:65], v[0:1], v[2:3]
	v_pk_mul_f32 v[0:1], v[96:97], s[38:39]
	s_mov_b32 s7, s38
	v_accvgpr_write_b32 a7, v1
	v_mov_b32_e32 v120, v46
	v_mov_b32_e32 v121, v52
	s_mov_b32 s47, 0xbf2c7751
	v_pk_fma_f32 v[4:5], v[48:49], s[6:7], v[0:1] neg_lo:[1,0,0] neg_hi:[1,0,0]
	v_pk_fma_f32 v[2:3], v[48:49], s[6:7], v[0:1]
	v_accvgpr_write_b32 a6, v0
	v_pk_mul_f32 v[0:1], v[120:121], s[46:47]
	s_mov_b32 s54, 0x3ee437d1
	v_mov_b32_e32 v46, v53
	s_mov_b32 s8, s47
	s_mov_b32 s9, s46
	v_accvgpr_write_b32 a11, v1
	v_mov_b32_e32 v118, v44
	v_mov_b32_e32 v119, v54
	s_mov_b32 s55, 0xbf65296c
	v_mov_b32_e32 v5, v3
	v_accvgpr_write_b32 a4, v2
	v_pk_fma_f32 v[10:11], v[46:47], s[8:9], v[0:1] neg_lo:[1,0,0] neg_hi:[1,0,0]
	v_pk_fma_f32 v[2:3], v[46:47], s[8:9], v[0:1]
	v_accvgpr_write_b32 a10, v0
	v_pk_mul_f32 v[0:1], v[118:119], s[54:55]
	s_mov_b32 s42, 0x3dbcf732
	v_mov_b32_e32 v44, v55
	s_mov_b32 s10, s55
	s_mov_b32 s11, s54
	v_accvgpr_write_b32 a15, v1
	v_mov_b32_e32 v126, v42
	v_mov_b32_e32 v127, v56
	s_mov_b32 s43, 0xbf7ee86f
	v_mov_b32_e32 v11, v3
	v_accvgpr_write_b32 a8, v2
	v_pk_fma_f32 v[14:15], v[44:45], s[10:11], v[0:1] neg_lo:[1,0,0] neg_hi:[1,0,0]
	v_pk_fma_f32 v[2:3], v[44:45], s[10:11], v[0:1]
	v_accvgpr_write_b32 a14, v0
	v_pk_mul_f32 v[0:1], v[126:127], s[42:43]
	s_mov_b32 s36, 0xbe8c1d8e
	v_mov_b32_e32 v42, v57
	s_mov_b32 s12, s43
	s_mov_b32 s13, s42
	v_accvgpr_write_b32 a19, v1
	v_mov_b32_e32 v128, v40
	v_mov_b32_e32 v129, v58
	s_mov_b32 s37, 0xbf763a35
	v_pk_add_f32 v[8:9], v[38:39], v[4:5]
	v_mov_b32_e32 v15, v3
	v_accvgpr_write_b32 a12, v2
	v_pk_fma_f32 v[18:19], v[42:43], s[12:13], v[0:1] neg_lo:[1,0,0] neg_hi:[1,0,0]
	v_pk_fma_f32 v[2:3], v[42:43], s[12:13], v[0:1]
	v_accvgpr_write_b32 a18, v0
	v_pk_mul_f32 v[0:1], v[128:129], s[36:37]
	s_mov_b32 s40, 0xbf1a4643
	v_pk_add_f32 v[12:13], v[10:11], v[8:9]
	v_mov_b32_e32 v40, v59
	s_mov_b32 s14, s37
	s_mov_b32 s15, s36
	v_accvgpr_write_b32 a23, v1
	v_mov_b32_e32 v130, v28
	v_mov_b32_e32 v131, v60
	s_mov_b32 s41, 0xbf4c4adb
	v_pk_add_f32 v[16:17], v[14:15], v[12:13]
	v_mov_b32_e32 v19, v3
	v_accvgpr_write_b32 a16, v2
	v_pk_fma_f32 v[26:27], v[40:41], s[14:15], v[0:1] neg_lo:[1,0,0] neg_hi:[1,0,0]
	v_pk_fma_f32 v[2:3], v[40:41], s[14:15], v[0:1]
	v_accvgpr_write_b32 a22, v0
	v_pk_mul_f32 v[0:1], v[130:131], s[40:41]
	s_mov_b32 s44, 0xbf59a7d5
	v_pk_add_f32 v[22:23], v[18:19], v[16:17]
	v_mov_b32_e32 v27, v3
	v_mov_b32_e32 v28, v61
	s_mov_b32 s16, s41
	s_mov_b32 s17, s40
	v_accvgpr_write_b32 a25, v1
	v_mov_b32_e32 v132, v24
	v_mov_b32_e32 v133, v30
	s_mov_b32 s45, 0xbf06c442
	v_pk_add_f32 v[50:51], v[26:27], v[22:23]
	v_pk_fma_f32 v[52:53], v[28:29], s[16:17], v[0:1] neg_lo:[1,0,0] neg_hi:[1,0,0]
	v_pk_fma_f32 v[26:27], v[28:29], s[16:17], v[0:1]
	v_accvgpr_write_b32 a24, v0
	v_mov_b32_e32 v24, v31
	s_mov_b32 s18, s45
	s_mov_b32 s19, s44
	v_pk_mul_f32 v[0:1], v[132:133], s[44:45]
	s_mov_b32 s50, 0xbf7ba420
	v_mov_b32_e32 v53, v27
	v_pk_fma_f32 v[54:55], v[24:25], s[18:19], v[0:1] neg_lo:[1,0,0] neg_hi:[1,0,0]
	v_pk_fma_f32 v[30:31], v[24:25], s[18:19], v[0:1]
	v_accvgpr_write_b32 a27, v1
	v_mov_b32_e32 v134, v20
	v_mov_b32_e32 v135, v62
	s_mov_b32 s51, 0xbe3c28d5
	v_pk_add_f32 v[52:53], v[52:53], v[50:51]
	v_accvgpr_write_b32 a26, v0
	v_mov_b32_e32 v55, v31
	v_mov_b32_e32 v20, v63
	s_mov_b32 s20, s51
	s_mov_b32 s21, s50
	v_pk_mul_f32 v[0:1], v[134:135], s[50:51]
	v_pk_add_f32 v[56:57], v[54:55], v[52:53]
	v_pk_fma_f32 v[58:59], v[20:21], s[20:21], v[0:1] neg_lo:[1,0,0] neg_hi:[1,0,0]
	v_pk_fma_f32 v[52:53], v[20:21], s[20:21], v[0:1]
	v_accvgpr_write_b32 a29, v1
	v_accvgpr_write_b32 a28, v0
	v_mov_b32_e32 v59, v53
	v_mul_u32_u24_e32 v0, 0x88, v34
	v_pk_add_f32 v[56:57], v[58:59], v[56:57]
	v_add3_u32 v22, 0, v0, v85
	v_pk_mul_f32 v[0:1], v[96:97], s[46:47]
	ds_write2_b64 v22, v[64:65], v[56:57] offset1:1
	v_pk_fma_f32 v[60:61], v[48:49], s[8:9], v[0:1] neg_lo:[1,0,0] neg_hi:[1,0,0]
	v_pk_fma_f32 v[56:57], v[48:49], s[8:9], v[0:1]
	v_pk_mul_f32 v[62:63], v[120:121], s[42:43]
	v_mov_b32_e32 v61, v57
	v_pk_add_f32 v[64:65], v[38:39], v[60:61]
	v_pk_fma_f32 v[66:67], v[46:47], s[12:13], v[62:63] neg_lo:[1,0,0] neg_hi:[1,0,0]
	v_pk_fma_f32 v[60:61], v[46:47], s[12:13], v[62:63]
	s_mov_b32 s63, 0x3f06c442
	v_mov_b32_e32 v67, v61
	v_pk_add_f32 v[68:69], v[66:67], v[64:65]
	v_pk_mul_f32 v[66:67], v[118:119], s[40:41]
	s_mov_b32 s62, s44
	v_pk_fma_f32 v[70:71], v[44:45], s[16:17], v[66:67] neg_lo:[1,0,0] neg_hi:[1,0,0]
	v_pk_fma_f32 v[64:65], v[44:45], s[16:17], v[66:67]
	s_mov_b32 s22, s63
	v_mov_b32_e32 v71, v65
	v_pk_add_f32 v[72:73], v[70:71], v[68:69]
	v_pk_mul_f32 v[70:71], v[126:127], s[50:51]
	s_mov_b32 s23, s44
	;; [unrolled: 7-line block ×3, first 2 shown]
	v_pk_fma_f32 v[78:79], v[40:41], s[22:23], v[74:75] neg_lo:[1,0,0] neg_hi:[1,0,0]
	v_pk_fma_f32 v[72:73], v[40:41], s[22:23], v[74:75]
	s_mov_b32 s24, s61
	v_mov_b32_e32 v79, v73
	v_pk_add_f32 v[80:81], v[78:79], v[76:77]
	s_mov_b32 s25, s36
	v_pk_mul_f32 v[78:79], v[130:131], s[60:61]
	v_accvgpr_write_b32 a0, v82
	v_accvgpr_write_b32 a1, v83
	v_pk_fma_f32 v[82:83], v[28:29], s[24:25], v[78:79] neg_lo:[1,0,0] neg_hi:[1,0,0]
	v_pk_fma_f32 v[76:77], v[28:29], s[24:25], v[78:79]
	s_mov_b32 s53, 0x3f65296c
	v_mov_b32_e32 v83, v77
	s_mov_b32 s52, s54
	v_mov_b32_e32 v23, v84
	v_mov_b32_e32 v27, v85
	v_pk_add_f32 v[84:85], v[82:83], v[80:81]
	s_mov_b32 s26, s53
	s_mov_b32 s27, s54
	v_pk_mul_f32 v[82:83], v[132:133], s[52:53]
	v_accvgpr_write_b32 a2, v86
	v_accvgpr_write_b32 a3, v87
	v_pk_fma_f32 v[86:87], v[24:25], s[26:27], v[82:83] neg_lo:[1,0,0] neg_hi:[1,0,0]
	v_pk_fma_f32 v[80:81], v[24:25], s[26:27], v[82:83]
	s_mov_b32 s57, 0x3eb8f4ab
	v_mov_b32_e32 v87, v81
	s_mov_b32 s56, s38
	v_mov_b32_e32 v31, v88
	v_pk_add_f32 v[88:89], v[86:87], v[84:85]
	s_mov_b32 s28, s57
	s_mov_b32 s29, s38
	v_pk_mul_f32 v[86:87], v[134:135], s[56:57]
	v_pk_mul_f32 v[58:59], v[120:121], s[40:41]
	v_pk_fma_f32 v[90:91], v[20:21], s[28:29], v[86:87] neg_lo:[1,0,0] neg_hi:[1,0,0]
	v_pk_fma_f32 v[84:85], v[20:21], s[28:29], v[86:87]
	v_pk_fma_f32 v[100:101], v[46:47], s[16:17], v[58:59] neg_lo:[1,0,0] neg_hi:[1,0,0]
	v_mov_b32_e32 v91, v85
	v_pk_add_f32 v[136:137], v[90:91], v[88:89]
	v_pk_mul_f32 v[88:89], v[96:97], s[54:55]
	s_mov_b32 s35, 0x3e3c28d5
	v_pk_fma_f32 v[92:93], v[48:49], s[10:11], v[88:89] neg_lo:[1,0,0] neg_hi:[1,0,0]
	v_pk_fma_f32 v[90:91], v[48:49], s[10:11], v[88:89]
	s_mov_b32 s34, s50
	v_mov_b32_e32 v93, v91
	v_pk_add_f32 v[98:99], v[38:39], v[92:93]
	v_pk_fma_f32 v[92:93], v[46:47], s[16:17], v[58:59]
	s_mov_b32 s30, s35
	v_mov_b32_e32 v101, v93
	v_pk_add_f32 v[102:103], v[100:101], v[98:99]
	s_mov_b32 s31, s50
	v_pk_mul_f32 v[100:101], v[118:119], s[34:35]
	s_mov_b32 s59, 0x3f2c7751
	v_pk_fma_f32 v[104:105], v[44:45], s[30:31], v[100:101] neg_lo:[1,0,0] neg_hi:[1,0,0]
	v_pk_fma_f32 v[98:99], v[44:45], s[30:31], v[100:101]
	s_mov_b32 s58, s46
	v_mov_b32_e32 v105, v99
	v_pk_add_f32 v[106:107], v[104:105], v[102:103]
	v_pk_mul_f32 v[104:105], v[126:127], s[60:61]
	s_mov_b32 s34, s59
	v_pk_fma_f32 v[108:109], v[42:43], s[24:25], v[104:105] neg_lo:[1,0,0] neg_hi:[1,0,0]
	v_pk_fma_f32 v[102:103], v[42:43], s[24:25], v[104:105]
	s_mov_b32 s35, s46
	v_mov_b32_e32 v109, v103
	v_pk_add_f32 v[110:111], v[108:109], v[106:107]
	v_pk_mul_f32 v[108:109], v[128:129], s[58:59]
	v_pk_mul_f32 v[54:55], v[120:121], s[50:51]
	v_pk_fma_f32 v[112:113], v[40:41], s[34:35], v[108:109] neg_lo:[1,0,0] neg_hi:[1,0,0]
	v_pk_fma_f32 v[106:107], v[40:41], s[34:35], v[108:109]
	v_pk_fma_f32 v[146:147], v[46:47], s[20:21], v[54:55] neg_lo:[1,0,0] neg_hi:[1,0,0]
	v_mov_b32_e32 v113, v107
	v_pk_add_f32 v[114:115], v[112:113], v[110:111]
	v_pk_mul_f32 v[112:113], v[130:131], s[38:39]
	s_mov_b32 s65, 0x3f4c4adb
	v_pk_fma_f32 v[116:117], v[28:29], s[6:7], v[112:113] neg_lo:[1,0,0] neg_hi:[1,0,0]
	v_pk_fma_f32 v[110:111], v[28:29], s[6:7], v[112:113]
	s_mov_b32 s64, s40
	v_mov_b32_e32 v117, v111
	v_pk_add_f32 v[122:123], v[116:117], v[114:115]
	v_pk_mul_f32 v[116:117], v[132:133], s[42:43]
	s_mov_b32 s48, s65
	v_pk_fma_f32 v[124:125], v[24:25], s[12:13], v[116:117] neg_lo:[1,0,0] neg_hi:[1,0,0]
	v_pk_fma_f32 v[114:115], v[24:25], s[12:13], v[116:117]
	s_mov_b32 s49, s40
	v_mov_b32_e32 v125, v115
	v_pk_add_f32 v[138:139], v[124:125], v[122:123]
	v_pk_mul_f32 v[124:125], v[134:135], s[44:45]
	v_pk_mul_f32 v[50:51], v[120:121], s[62:63]
	v_pk_fma_f32 v[140:141], v[20:21], s[18:19], v[124:125] neg_lo:[1,0,0] neg_hi:[1,0,0]
	v_pk_fma_f32 v[122:123], v[20:21], s[18:19], v[124:125]
	v_pk_fma_f32 v[178:179], v[46:47], s[22:23], v[50:51] neg_lo:[1,0,0] neg_hi:[1,0,0]
	v_mov_b32_e32 v141, v123
	v_pk_add_f32 v[138:139], v[140:141], v[138:139]
	ds_write2_b64 v22, v[136:137], v[138:139] offset0:2 offset1:3
	v_pk_mul_f32 v[136:137], v[96:97], s[42:43]
	s_mov_b32 s63, 0x3f7ee86f
	v_pk_fma_f32 v[140:141], v[48:49], s[12:13], v[136:137] neg_lo:[1,0,0] neg_hi:[1,0,0]
	v_pk_fma_f32 v[138:139], v[48:49], s[12:13], v[136:137]
	s_mov_b32 s62, s42
	v_mov_b32_e32 v141, v139
	v_pk_add_f32 v[144:145], v[38:39], v[140:141]
	v_pk_fma_f32 v[140:141], v[46:47], s[20:21], v[54:55]
	v_pk_mul_f32 v[4:5], v[120:121], s[60:61]
	v_mov_b32_e32 v147, v141
	v_pk_add_f32 v[148:149], v[146:147], v[144:145]
	v_pk_mul_f32 v[146:147], v[118:119], s[60:61]
	v_pk_fma_f32 v[214:215], v[46:47], s[24:25], v[4:5] neg_lo:[1,0,0] neg_hi:[1,0,0]
	v_pk_fma_f32 v[150:151], v[44:45], s[24:25], v[146:147] neg_lo:[1,0,0] neg_hi:[1,0,0]
	v_pk_fma_f32 v[144:145], v[44:45], s[24:25], v[146:147]
	v_pk_fma_f32 v[216:217], v[46:47], s[24:25], v[4:5]
	v_mov_b32_e32 v151, v145
	v_pk_add_f32 v[152:153], v[150:151], v[148:149]
	v_pk_mul_f32 v[150:151], v[126:127], s[56:57]
	v_mov_b32_e32 v215, v217
	v_pk_fma_f32 v[154:155], v[42:43], s[28:29], v[150:151] neg_lo:[1,0,0] neg_hi:[1,0,0]
	v_pk_fma_f32 v[148:149], v[42:43], s[28:29], v[150:151]
	v_pk_mul_f32 v[246:247], v[120:121], s[52:53]
	v_mov_b32_e32 v155, v149
	v_pk_add_f32 v[156:157], v[154:155], v[152:153]
	v_pk_mul_f32 v[154:155], v[128:129], s[54:55]
	v_pk_fma_f32 v[248:249], v[46:47], s[26:27], v[246:247] neg_lo:[1,0,0] neg_hi:[1,0,0]
	v_pk_fma_f32 v[158:159], v[40:41], s[10:11], v[154:155] neg_lo:[1,0,0] neg_hi:[1,0,0]
	v_pk_fma_f32 v[152:153], v[40:41], s[10:11], v[154:155]
	v_pk_fma_f32 v[250:251], v[46:47], s[26:27], v[246:247]
	v_mov_b32_e32 v159, v153
	v_pk_add_f32 v[160:161], v[158:159], v[156:157]
	v_pk_mul_f32 v[158:159], v[130:131], s[44:45]
	v_mov_b32_e32 v249, v251
	v_pk_fma_f32 v[162:163], v[28:29], s[18:19], v[158:159] neg_lo:[1,0,0] neg_hi:[1,0,0]
	v_pk_fma_f32 v[156:157], v[28:29], s[18:19], v[158:159]
	v_accvgpr_write_b32 a31, v1
	v_mov_b32_e32 v163, v157
	v_pk_add_f32 v[164:165], v[162:163], v[160:161]
	v_pk_mul_f32 v[162:163], v[132:133], s[64:65]
	v_accvgpr_write_b32 a20, v2
	v_pk_fma_f32 v[166:167], v[24:25], s[48:49], v[162:163] neg_lo:[1,0,0] neg_hi:[1,0,0]
	v_pk_fma_f32 v[160:161], v[24:25], s[48:49], v[162:163]
	v_accvgpr_write_b32 a30, v0
	v_mov_b32_e32 v167, v161
	v_pk_add_f32 v[168:169], v[166:167], v[164:165]
	v_pk_mul_f32 v[166:167], v[134:135], s[58:59]
	s_nop 0
	v_pk_fma_f32 v[170:171], v[20:21], s[34:35], v[166:167] neg_lo:[1,0,0] neg_hi:[1,0,0]
	v_pk_fma_f32 v[164:165], v[20:21], s[34:35], v[166:167]
	s_nop 0
	v_mov_b32_e32 v171, v165
	v_pk_add_f32 v[206:207], v[170:171], v[168:169]
	v_pk_mul_f32 v[168:169], v[96:97], s[36:37]
	s_nop 0
	v_pk_fma_f32 v[172:173], v[48:49], s[14:15], v[168:169] neg_lo:[1,0,0] neg_hi:[1,0,0]
	v_pk_fma_f32 v[170:171], v[48:49], s[14:15], v[168:169]
	s_nop 0
	v_mov_b32_e32 v173, v171
	v_pk_add_f32 v[176:177], v[38:39], v[172:173]
	v_pk_fma_f32 v[172:173], v[46:47], s[22:23], v[50:51]
	s_nop 0
	v_mov_b32_e32 v179, v173
	v_pk_add_f32 v[180:181], v[178:179], v[176:177]
	v_pk_mul_f32 v[178:179], v[118:119], s[58:59]
	s_nop 0
	v_pk_fma_f32 v[182:183], v[44:45], s[34:35], v[178:179] neg_lo:[1,0,0] neg_hi:[1,0,0]
	v_pk_fma_f32 v[176:177], v[44:45], s[34:35], v[178:179]
	s_nop 0
	v_mov_b32_e32 v183, v177
	v_pk_add_f32 v[184:185], v[182:183], v[180:181]
	v_pk_mul_f32 v[182:183], v[126:127], s[54:55]
	s_mov_b32 s54, s63
	v_pk_fma_f32 v[186:187], v[42:43], s[10:11], v[182:183] neg_lo:[1,0,0] neg_hi:[1,0,0]
	v_pk_fma_f32 v[180:181], v[42:43], s[10:11], v[182:183]
	s_mov_b32 s55, s42
	v_mov_b32_e32 v187, v181
	v_pk_add_f32 v[188:189], v[186:187], v[184:185]
	v_pk_mul_f32 v[186:187], v[128:129], s[50:51]
	s_nop 0
	v_pk_fma_f32 v[190:191], v[40:41], s[20:21], v[186:187] neg_lo:[1,0,0] neg_hi:[1,0,0]
	v_pk_fma_f32 v[184:185], v[40:41], s[20:21], v[186:187]
	s_nop 0
	v_mov_b32_e32 v191, v185
	v_pk_add_f32 v[192:193], v[190:191], v[188:189]
	v_pk_mul_f32 v[190:191], v[130:131], s[62:63]
	s_nop 0
	v_pk_fma_f32 v[194:195], v[28:29], s[54:55], v[190:191] neg_lo:[1,0,0] neg_hi:[1,0,0]
	v_pk_fma_f32 v[188:189], v[28:29], s[54:55], v[190:191]
	s_nop 0
	v_mov_b32_e32 v195, v189
	v_pk_add_f32 v[196:197], v[194:195], v[192:193]
	v_pk_mul_f32 v[194:195], v[132:133], s[38:39]
	s_nop 0
	v_pk_fma_f32 v[198:199], v[24:25], s[6:7], v[194:195] neg_lo:[1,0,0] neg_hi:[1,0,0]
	v_pk_fma_f32 v[192:193], v[24:25], s[6:7], v[194:195]
	s_nop 0
	v_mov_b32_e32 v199, v193
	v_pk_add_f32 v[208:209], v[198:199], v[196:197]
	v_pk_mul_f32 v[198:199], v[134:135], s[40:41]
	s_nop 0
	v_pk_fma_f32 v[210:211], v[20:21], s[16:17], v[198:199] neg_lo:[1,0,0] neg_hi:[1,0,0]
	v_pk_fma_f32 v[196:197], v[20:21], s[16:17], v[198:199]
	s_nop 0
	v_mov_b32_e32 v211, v197
	v_pk_add_f32 v[208:209], v[210:211], v[208:209]
	ds_write2_b64 v22, v[206:207], v[208:209] offset0:4 offset1:5
	v_pk_mul_f32 v[206:207], v[96:97], s[40:41]
	s_nop 0
	v_pk_fma_f32 v[208:209], v[48:49], s[16:17], v[206:207] neg_lo:[1,0,0] neg_hi:[1,0,0]
	v_pk_fma_f32 v[210:211], v[48:49], s[16:17], v[206:207]
	s_nop 0
	v_mov_b32_e32 v209, v211
	v_pk_add_f32 v[208:209], v[38:39], v[208:209]
	s_nop 0
	v_pk_add_f32 v[208:209], v[214:215], v[208:209]
	v_pk_mul_f32 v[214:215], v[118:119], s[38:39]
	s_nop 0
	v_pk_fma_f32 v[218:219], v[44:45], s[6:7], v[214:215] neg_lo:[1,0,0] neg_hi:[1,0,0]
	v_pk_fma_f32 v[220:221], v[44:45], s[6:7], v[214:215]
	s_nop 0
	v_mov_b32_e32 v219, v221
	v_pk_add_f32 v[208:209], v[218:219], v[208:209]
	v_pk_mul_f32 v[218:219], v[126:127], s[44:45]
	s_nop 0
	v_pk_fma_f32 v[222:223], v[42:43], s[18:19], v[218:219] neg_lo:[1,0,0] neg_hi:[1,0,0]
	v_pk_fma_f32 v[224:225], v[42:43], s[18:19], v[218:219]
	s_nop 0
	v_mov_b32_e32 v223, v225
	;; [unrolled: 7-line block ×7, first 2 shown]
	v_pk_add_f32 v[242:243], v[38:39], v[242:243]
	s_nop 0
	v_pk_add_f32 v[242:243], v[248:249], v[242:243]
	v_pk_mul_f32 v[248:249], v[118:119], s[42:43]
	v_pk_mul_f32 v[118:119], v[118:119], s[44:45]
	v_pk_fma_f32 v[252:253], v[44:45], s[12:13], v[248:249] neg_lo:[1,0,0] neg_hi:[1,0,0]
	v_pk_fma_f32 v[254:255], v[44:45], s[12:13], v[248:249]
	v_pk_fma_f32 v[8:9], v[44:45], s[18:19], v[118:119]
	v_mov_b32_e32 v253, v255
	v_pk_add_f32 v[242:243], v[252:253], v[242:243]
	v_pk_mul_f32 v[252:253], v[126:127], s[64:65]
	v_pk_mul_f32 v[126:127], v[126:127], s[58:59]
	v_pk_fma_f32 v[0:1], v[42:43], s[48:49], v[252:253] neg_lo:[1,0,0] neg_hi:[1,0,0]
	v_pk_fma_f32 v[2:3], v[42:43], s[48:49], v[252:253]
	v_pk_fma_f32 v[10:11], v[42:43], s[34:35], v[126:127]
	v_mov_b32_e32 v1, v3
	;; [unrolled: 7-line block ×6, first 2 shown]
	v_pk_add_f32 v[0:1], v[36:37], v[0:1]
	ds_write2_b64 v22, v[208:209], v[0:1] offset0:6 offset1:7
	v_pk_mul_f32 v[0:1], v[96:97], s[50:51]
	v_pk_mul_f32 v[36:37], v[120:121], s[56:57]
	v_pk_fma_f32 v[96:97], v[48:49], s[20:21], v[0:1] neg_lo:[1,0,0] neg_hi:[1,0,0]
	v_pk_fma_f32 v[120:121], v[48:49], s[20:21], v[0:1]
	v_pk_fma_f32 v[208:209], v[46:47], s[28:29], v[36:37] neg_lo:[1,0,0] neg_hi:[1,0,0]
	v_mov_b32_e32 v97, v121
	v_pk_fma_f32 v[6:7], v[46:47], s[28:29], v[36:37]
	v_pk_add_f32 v[96:97], v[38:39], v[96:97]
	v_mov_b32_e32 v209, v7
	v_pk_add_f32 v[96:97], v[208:209], v[96:97]
	v_pk_fma_f32 v[208:209], v[44:45], s[18:19], v[118:119] neg_lo:[1,0,0] neg_hi:[1,0,0]
	v_pk_fma_f32 v[0:1], v[48:49], s[20:21], v[0:1] neg_lo:[0,0,1] neg_hi:[0,0,1]
	v_mov_b32_e32 v209, v9
	v_pk_add_f32 v[96:97], v[208:209], v[96:97]
	v_pk_fma_f32 v[208:209], v[42:43], s[34:35], v[126:127] neg_lo:[1,0,0] neg_hi:[1,0,0]
	v_mov_b32_e32 v121, v1
	v_mov_b32_e32 v209, v11
	v_pk_fma_f32 v[0:1], v[46:47], s[28:29], v[36:37] neg_lo:[0,0,1] neg_hi:[0,0,1]
	v_pk_add_f32 v[96:97], v[208:209], v[96:97]
	v_pk_fma_f32 v[208:209], v[40:41], s[16:17], v[128:129] neg_lo:[1,0,0] neg_hi:[1,0,0]
	v_mov_b32_e32 v7, v1
	v_pk_add_f32 v[0:1], v[38:39], v[120:121]
	v_mov_b32_e32 v209, v13
	v_pk_add_f32 v[0:1], v[6:7], v[0:1]
	v_pk_fma_f32 v[6:7], v[44:45], s[18:19], v[118:119] neg_lo:[0,0,1] neg_hi:[0,0,1]
	v_pk_add_f32 v[96:97], v[208:209], v[96:97]
	v_pk_fma_f32 v[208:209], v[28:29], s[26:27], v[130:131] neg_lo:[1,0,0] neg_hi:[1,0,0]
	v_mov_b32_e32 v9, v7
	v_pk_fma_f32 v[6:7], v[42:43], s[34:35], v[126:127] neg_lo:[0,0,1] neg_hi:[0,0,1]
	v_mov_b32_e32 v209, v15
	v_pk_add_f32 v[0:1], v[8:9], v[0:1]
	v_mov_b32_e32 v11, v7
	v_pk_fma_f32 v[6:7], v[40:41], s[16:17], v[128:129] neg_lo:[0,0,1] neg_hi:[0,0,1]
	v_pk_add_f32 v[96:97], v[208:209], v[96:97]
	v_pk_fma_f32 v[208:209], v[24:25], s[14:15], v[132:133] neg_lo:[1,0,0] neg_hi:[1,0,0]
	v_pk_add_f32 v[0:1], v[10:11], v[0:1]
	v_mov_b32_e32 v13, v7
	v_pk_fma_f32 v[6:7], v[28:29], s[26:27], v[130:131] neg_lo:[0,0,1] neg_hi:[0,0,1]
	v_mov_b32_e32 v209, v17
	v_pk_add_f32 v[0:1], v[12:13], v[0:1]
	v_mov_b32_e32 v15, v7
	v_pk_fma_f32 v[6:7], v[24:25], s[14:15], v[132:133] neg_lo:[0,0,1] neg_hi:[0,0,1]
	v_pk_add_f32 v[96:97], v[208:209], v[96:97]
	v_pk_fma_f32 v[208:209], v[20:21], s[54:55], v[134:135] neg_lo:[1,0,0] neg_hi:[1,0,0]
	v_pk_add_f32 v[0:1], v[14:15], v[0:1]
	v_mov_b32_e32 v17, v7
	v_pk_fma_f32 v[6:7], v[20:21], s[54:55], v[134:135] neg_lo:[0,0,1] neg_hi:[0,0,1]
	v_mov_b32_e32 v209, v19
	v_pk_add_f32 v[0:1], v[16:17], v[0:1]
	v_mov_b32_e32 v19, v7
	v_pk_add_f32 v[96:97], v[208:209], v[96:97]
	v_pk_add_f32 v[0:1], v[18:19], v[0:1]
	ds_write2_b64 v22, v[96:97], v[0:1] offset0:8 offset1:9
	v_pk_fma_f32 v[0:1], v[48:49], s[18:19], v[238:239] neg_lo:[0,0,1] neg_hi:[0,0,1]
	v_pk_fma_f32 v[6:7], v[44:45], s[12:13], v[248:249] neg_lo:[0,0,1] neg_hi:[0,0,1]
	v_mov_b32_e32 v245, v1
	v_pk_fma_f32 v[0:1], v[46:47], s[26:27], v[246:247] neg_lo:[0,0,1] neg_hi:[0,0,1]
	v_mov_b32_e32 v255, v7
	v_mov_b32_e32 v251, v1
	v_pk_add_f32 v[0:1], v[38:39], v[244:245]
	v_pk_fma_f32 v[6:7], v[42:43], s[48:49], v[252:253] neg_lo:[0,0,1] neg_hi:[0,0,1]
	v_pk_add_f32 v[0:1], v[250:251], v[0:1]
	v_mov_b32_e32 v3, v7
	v_pk_add_f32 v[0:1], v[254:255], v[0:1]
	s_nop 0
	v_pk_add_f32 v[0:1], v[2:3], v[0:1]
	v_pk_fma_f32 v[2:3], v[40:41], s[6:7], v[242:243] neg_lo:[0,0,1] neg_hi:[0,0,1]
	s_nop 0
	v_mov_b32_e32 v143, v3
	v_pk_fma_f32 v[2:3], v[28:29], s[20:21], v[32:33] neg_lo:[0,0,1] neg_hi:[0,0,1]
	v_pk_add_f32 v[0:1], v[142:143], v[0:1]
	v_mov_b32_e32 v95, v3
	v_pk_fma_f32 v[2:3], v[24:25], s[34:35], v[174:175] neg_lo:[0,0,1] neg_hi:[0,0,1]
	v_pk_add_f32 v[0:1], v[94:95], v[0:1]
	v_mov_b32_e32 v213, v3
	v_pk_fma_f32 v[2:3], v[20:21], s[14:15], v[204:205] neg_lo:[0,0,1] neg_hi:[0,0,1]
	v_pk_add_f32 v[0:1], v[212:213], v[0:1]
	v_mov_b32_e32 v203, v3
	v_pk_fma_f32 v[2:3], v[48:49], s[16:17], v[206:207] neg_lo:[0,0,1] neg_hi:[0,0,1]
	v_pk_add_f32 v[0:1], v[202:203], v[0:1]
	v_mov_b32_e32 v211, v3
	v_pk_fma_f32 v[2:3], v[46:47], s[24:25], v[4:5] neg_lo:[0,0,1] neg_hi:[0,0,1]
	v_pk_fma_f32 v[4:5], v[44:45], s[6:7], v[214:215] neg_lo:[0,0,1] neg_hi:[0,0,1]
	v_mov_b32_e32 v217, v3
	v_pk_add_f32 v[2:3], v[38:39], v[210:211]
	v_mov_b32_e32 v221, v5
	v_pk_add_f32 v[2:3], v[216:217], v[2:3]
	v_pk_fma_f32 v[4:5], v[42:43], s[18:19], v[218:219] neg_lo:[0,0,1] neg_hi:[0,0,1]
	v_pk_add_f32 v[2:3], v[220:221], v[2:3]
	v_mov_b32_e32 v225, v5
	v_pk_fma_f32 v[4:5], v[40:41], s[54:55], v[222:223] neg_lo:[0,0,1] neg_hi:[0,0,1]
	v_pk_add_f32 v[2:3], v[224:225], v[2:3]
	v_mov_b32_e32 v229, v5
	;; [unrolled: 3-line block ×5, first 2 shown]
	v_pk_add_f32 v[2:3], v[240:241], v[2:3]
	ds_write2_b64 v22, v[0:1], v[2:3] offset0:10 offset1:11
	v_pk_fma_f32 v[2:3], v[44:45], s[34:35], v[178:179] neg_lo:[0,0,1] neg_hi:[0,0,1]
	v_pk_fma_f32 v[0:1], v[48:49], s[14:15], v[168:169] neg_lo:[0,0,1] neg_hi:[0,0,1]
	v_mov_b32_e32 v177, v3
	v_pk_fma_f32 v[2:3], v[42:43], s[10:11], v[182:183] neg_lo:[0,0,1] neg_hi:[0,0,1]
	v_mov_b32_e32 v171, v1
	v_mov_b32_e32 v181, v3
	v_pk_fma_f32 v[2:3], v[40:41], s[20:21], v[186:187] neg_lo:[0,0,1] neg_hi:[0,0,1]
	v_pk_fma_f32 v[0:1], v[46:47], s[22:23], v[50:51] neg_lo:[0,0,1] neg_hi:[0,0,1]
	v_mov_b32_e32 v185, v3
	v_pk_fma_f32 v[2:3], v[28:29], s[54:55], v[190:191] neg_lo:[0,0,1] neg_hi:[0,0,1]
	v_mov_b32_e32 v173, v1
	v_mov_b32_e32 v189, v3
	v_pk_fma_f32 v[2:3], v[24:25], s[6:7], v[194:195] neg_lo:[0,0,1] neg_hi:[0,0,1]
	v_pk_add_f32 v[0:1], v[38:39], v[170:171]
	v_mov_b32_e32 v193, v3
	v_pk_fma_f32 v[2:3], v[20:21], s[16:17], v[198:199] neg_lo:[0,0,1] neg_hi:[0,0,1]
	v_pk_fma_f32 v[4:5], v[44:45], s[24:25], v[146:147] neg_lo:[0,0,1] neg_hi:[0,0,1]
	v_mov_b32_e32 v197, v3
	v_pk_fma_f32 v[2:3], v[48:49], s[12:13], v[136:137] neg_lo:[0,0,1] neg_hi:[0,0,1]
	v_pk_add_f32 v[0:1], v[172:173], v[0:1]
	v_mov_b32_e32 v139, v3
	v_pk_fma_f32 v[2:3], v[46:47], s[20:21], v[54:55] neg_lo:[0,0,1] neg_hi:[0,0,1]
	v_mov_b32_e32 v145, v5
	v_mov_b32_e32 v141, v3
	v_pk_add_f32 v[2:3], v[38:39], v[138:139]
	v_pk_fma_f32 v[4:5], v[42:43], s[28:29], v[150:151] neg_lo:[0,0,1] neg_hi:[0,0,1]
	v_pk_add_f32 v[2:3], v[140:141], v[2:3]
	v_pk_add_f32 v[0:1], v[176:177], v[0:1]
	;; [unrolled: 1-line block ×3, first 2 shown]
	v_mov_b32_e32 v149, v5
	v_pk_fma_f32 v[4:5], v[40:41], s[10:11], v[154:155] neg_lo:[0,0,1] neg_hi:[0,0,1]
	v_pk_add_f32 v[0:1], v[180:181], v[0:1]
	v_pk_add_f32 v[2:3], v[148:149], v[2:3]
	v_mov_b32_e32 v153, v5
	v_pk_fma_f32 v[4:5], v[28:29], s[18:19], v[158:159] neg_lo:[0,0,1] neg_hi:[0,0,1]
	v_pk_add_f32 v[0:1], v[184:185], v[0:1]
	v_pk_add_f32 v[2:3], v[152:153], v[2:3]
	;; [unrolled: 4-line block ×4, first 2 shown]
	v_mov_b32_e32 v165, v5
	v_pk_add_f32 v[0:1], v[196:197], v[0:1]
	v_pk_add_f32 v[2:3], v[164:165], v[2:3]
	ds_write2_b64 v22, v[0:1], v[2:3] offset0:12 offset1:13
	v_pk_fma_f32 v[2:3], v[44:45], s[30:31], v[100:101] neg_lo:[0,0,1] neg_hi:[0,0,1]
	v_pk_fma_f32 v[0:1], v[48:49], s[10:11], v[88:89] neg_lo:[0,0,1] neg_hi:[0,0,1]
	v_mov_b32_e32 v99, v3
	v_pk_fma_f32 v[2:3], v[42:43], s[24:25], v[104:105] neg_lo:[0,0,1] neg_hi:[0,0,1]
	v_mov_b32_e32 v91, v1
	v_mov_b32_e32 v103, v3
	v_pk_fma_f32 v[2:3], v[40:41], s[34:35], v[108:109] neg_lo:[0,0,1] neg_hi:[0,0,1]
	v_pk_fma_f32 v[0:1], v[46:47], s[16:17], v[58:59] neg_lo:[0,0,1] neg_hi:[0,0,1]
	v_mov_b32_e32 v107, v3
	v_pk_fma_f32 v[2:3], v[28:29], s[6:7], v[112:113] neg_lo:[0,0,1] neg_hi:[0,0,1]
	v_mov_b32_e32 v93, v1
	v_mov_b32_e32 v111, v3
	v_pk_fma_f32 v[2:3], v[24:25], s[12:13], v[116:117] neg_lo:[0,0,1] neg_hi:[0,0,1]
	v_pk_add_f32 v[0:1], v[38:39], v[90:91]
	v_mov_b32_e32 v115, v3
	v_pk_fma_f32 v[2:3], v[20:21], s[18:19], v[124:125] neg_lo:[0,0,1] neg_hi:[0,0,1]
	v_pk_fma_f32 v[4:5], v[44:45], s[16:17], v[66:67] neg_lo:[0,0,1] neg_hi:[0,0,1]
	v_mov_b32_e32 v123, v3
	v_accvgpr_read_b32 v2, a30
	v_accvgpr_read_b32 v3, a31
	v_pk_fma_f32 v[2:3], v[48:49], s[8:9], v[2:3] neg_lo:[0,0,1] neg_hi:[0,0,1]
	v_pk_add_f32 v[0:1], v[92:93], v[0:1]
	v_mov_b32_e32 v57, v3
	v_pk_fma_f32 v[2:3], v[46:47], s[12:13], v[62:63] neg_lo:[0,0,1] neg_hi:[0,0,1]
	v_mov_b32_e32 v65, v5
	v_mov_b32_e32 v61, v3
	v_pk_add_f32 v[2:3], v[38:39], v[56:57]
	v_pk_fma_f32 v[4:5], v[42:43], s[20:21], v[70:71] neg_lo:[0,0,1] neg_hi:[0,0,1]
	v_pk_add_f32 v[2:3], v[60:61], v[2:3]
	v_pk_add_f32 v[0:1], v[98:99], v[0:1]
	;; [unrolled: 1-line block ×3, first 2 shown]
	v_mov_b32_e32 v69, v5
	v_pk_fma_f32 v[4:5], v[40:41], s[22:23], v[74:75] neg_lo:[0,0,1] neg_hi:[0,0,1]
	v_pk_add_f32 v[0:1], v[102:103], v[0:1]
	v_pk_add_f32 v[2:3], v[68:69], v[2:3]
	v_mov_b32_e32 v73, v5
	v_pk_fma_f32 v[4:5], v[28:29], s[24:25], v[78:79] neg_lo:[0,0,1] neg_hi:[0,0,1]
	v_pk_add_f32 v[0:1], v[106:107], v[0:1]
	v_pk_add_f32 v[2:3], v[72:73], v[2:3]
	;; [unrolled: 4-line block ×4, first 2 shown]
	v_mov_b32_e32 v85, v5
	v_pk_add_f32 v[0:1], v[122:123], v[0:1]
	v_pk_add_f32 v[2:3], v[84:85], v[2:3]
	ds_write2_b64 v22, v[0:1], v[2:3] offset0:14 offset1:15
	v_accvgpr_read_b32 v0, a6
	v_accvgpr_read_b32 v1, a7
	;; [unrolled: 1-line block ×3, first 2 shown]
	v_pk_fma_f32 v[0:1], v[48:49], s[6:7], v[0:1] neg_lo:[0,0,1] neg_hi:[0,0,1]
	v_accvgpr_read_b32 v3, a11
	v_accvgpr_read_b32 v0, a4
	v_pk_fma_f32 v[2:3], v[46:47], s[8:9], v[2:3] neg_lo:[0,0,1] neg_hi:[0,0,1]
	v_pk_add_f32 v[0:1], v[38:39], v[0:1]
	v_accvgpr_read_b32 v2, a8
	v_pk_add_f32 v[0:1], v[2:3], v[0:1]
	v_accvgpr_read_b32 v2, a14
	v_accvgpr_read_b32 v3, a15
	v_pk_fma_f32 v[2:3], v[44:45], s[10:11], v[2:3] neg_lo:[0,0,1] neg_hi:[0,0,1]
	v_mov_b32_e32 v85, v27
	v_accvgpr_read_b32 v2, a12
	v_pk_add_f32 v[0:1], v[2:3], v[0:1]
	v_accvgpr_read_b32 v2, a18
	v_accvgpr_read_b32 v3, a19
	v_pk_fma_f32 v[2:3], v[42:43], s[12:13], v[2:3] neg_lo:[0,0,1] neg_hi:[0,0,1]
	v_mov_b32_e32 v88, v31
	v_accvgpr_read_b32 v2, a16
	v_pk_add_f32 v[0:1], v[2:3], v[0:1]
	v_accvgpr_read_b32 v2, a22
	v_accvgpr_read_b32 v3, a23
	v_pk_fma_f32 v[2:3], v[40:41], s[14:15], v[2:3] neg_lo:[0,0,1] neg_hi:[0,0,1]
	v_accvgpr_read_b32 v83, a1
	v_accvgpr_read_b32 v2, a20
	v_pk_add_f32 v[0:1], v[2:3], v[0:1]
	v_accvgpr_read_b32 v2, a24
	v_accvgpr_read_b32 v3, a25
	v_pk_fma_f32 v[2:3], v[28:29], s[16:17], v[2:3] neg_lo:[0,0,1] neg_hi:[0,0,1]
	v_accvgpr_read_b32 v87, a3
	v_mov_b32_e32 v27, v3
	v_accvgpr_read_b32 v2, a26
	v_accvgpr_read_b32 v3, a27
	v_pk_fma_f32 v[2:3], v[24:25], s[18:19], v[2:3] neg_lo:[0,0,1] neg_hi:[0,0,1]
	v_pk_add_f32 v[0:1], v[26:27], v[0:1]
	v_mov_b32_e32 v31, v3
	v_accvgpr_read_b32 v2, a28
	v_accvgpr_read_b32 v3, a29
	v_pk_fma_f32 v[2:3], v[20:21], s[20:21], v[2:3] neg_lo:[0,0,1] neg_hi:[0,0,1]
	v_pk_add_f32 v[0:1], v[30:31], v[0:1]
	v_mov_b32_e32 v53, v3
	v_accvgpr_read_b32 v82, a0
	v_accvgpr_read_b32 v86, a2
	v_mov_b32_e32 v84, v23
	v_pk_add_f32 v[0:1], v[52:53], v[0:1]
	ds_write_b64 v22, v[0:1] offset:128
.LBB0_18:
	s_or_b64 exec, exec, s[2:3]
	s_movk_i32 s2, 0xf1
	v_add_u16_e32 v76, 0x88, v34
	v_add_u32_e32 v67, 0xcc, v34
	v_mul_lo_u16_sdwa v0, v76, s2 dst_sel:DWORD dst_unused:UNUSED_PAD src0_sel:BYTE_0 src1_sel:DWORD
	s_mov_b32 s3, 0xf0f1
	v_lshrrev_b16_e32 v64, 12, v0
	v_mul_u32_u24_sdwa v77, v67, s3 dst_sel:DWORD dst_unused:UNUSED_PAD src0_sel:WORD_0 src1_sel:DWORD
	v_mul_lo_u16_e32 v0, 17, v64
	v_lshrrev_b32_e32 v66, 20, v77
	v_sub_u16_e32 v65, v76, v0
	v_mul_lo_u16_e32 v0, 17, v66
	v_sub_u16_e32 v68, v67, v0
	v_mul_u32_u24_e32 v0, 3, v68
	v_mov_b32_e32 v73, 3
	v_lshlrev_b32_e32 v0, 3, v0
	s_waitcnt lgkmcnt(0)
	s_barrier
	global_load_dwordx2 v[30:31], v0, s[4:5] offset:16
	global_load_dwordx4 v[6:9], v0, s[4:5]
	v_mul_u32_u24_sdwa v0, v65, v73 dst_sel:DWORD dst_unused:UNUSED_PAD src0_sel:BYTE_0 src1_sel:DWORD
	v_lshlrev_b32_e32 v0, 3, v0
	global_load_dwordx4 v[10:13], v0, s[4:5]
	global_load_dwordx2 v[32:33], v0, s[4:5] offset:16
	v_add_u16_e32 v0, 0x44, v34
	v_mul_lo_u16_sdwa v1, v0, s2 dst_sel:DWORD dst_unused:UNUSED_PAD src0_sel:BYTE_0 src1_sel:DWORD
	v_lshrrev_b16_e32 v69, 12, v1
	v_mul_lo_u16_e32 v1, 17, v69
	v_sub_u16_e32 v70, v0, v1
	v_mul_u32_u24_sdwa v0, v70, v73 dst_sel:DWORD dst_unused:UNUSED_PAD src0_sel:BYTE_0 src1_sel:DWORD
	v_lshlrev_b32_e32 v0, 3, v0
	global_load_dwordx4 v[14:17], v0, s[4:5]
	global_load_dwordx2 v[36:37], v0, s[4:5] offset:16
	v_mul_lo_u16_sdwa v4, v34, s2 dst_sel:DWORD dst_unused:UNUSED_PAD src0_sel:BYTE_0 src1_sel:DWORD
	v_lshrrev_b16_e32 v71, 12, v4
	v_mul_lo_u16_e32 v4, 17, v71
	v_sub_u16_e32 v72, v34, v4
	v_mul_u32_u24_sdwa v4, v72, v73 dst_sel:DWORD dst_unused:UNUSED_PAD src0_sel:BYTE_0 src1_sel:DWORD
	v_lshlrev_b32_e32 v4, 3, v4
	ds_read2_b64 v[18:21], v200 offset0:68 offset1:136
	global_load_dwordx2 v[58:59], v4, s[4:5] offset:16
	global_load_dwordx4 v[22:25], v4, s[4:5]
	v_add_u32_e32 v0, 0x400, v200
	v_add_u32_e32 v3, 0xc00, v200
	;; [unrolled: 1-line block ×6, first 2 shown]
	ds_read_b64 v[60:61], v200 offset:8160
	ds_read_b64 v[62:63], v201
	ds_read2_b64 v[26:29], v0 offset0:76 offset1:144
	ds_read2_b64 v[38:41], v3 offset0:92 offset1:160
	;; [unrolled: 1-line block ×6, first 2 shown]
	s_movk_i32 s3, 0x220
	v_mad_u32_u24 v71, v71, s3, 0
	v_mad_u32_u24 v69, v69, s3, 0
	;; [unrolled: 1-line block ×4, first 2 shown]
	v_lshlrev_b32_sdwa v72, v73, v72 dst_sel:DWORD dst_unused:UNUSED_PAD src0_sel:DWORD src1_sel:BYTE_0
	v_lshlrev_b32_sdwa v70, v73, v70 dst_sel:DWORD dst_unused:UNUSED_PAD src0_sel:DWORD src1_sel:BYTE_0
	;; [unrolled: 1-line block ×3, first 2 shown]
	v_lshlrev_b32_e32 v68, 3, v68
	v_add3_u32 v78, v71, v72, v85
	v_add3_u32 v79, v69, v70, v85
	v_add3_u32 v80, v64, v65, v85
	v_add3_u32 v81, v66, v68, v85
	s_waitcnt lgkmcnt(0)
	s_barrier
	s_movk_i32 s2, 0x79
	s_waitcnt vmcnt(7)
	v_pk_mul_f32 v[68:69], v[60:61], v[30:31] op_sel:[0,1]
	s_waitcnt vmcnt(6)
	v_pk_mul_f32 v[64:65], v[38:39], v[6:7] op_sel:[0,1]
	v_mov_b32_e32 v66, v9
	s_waitcnt vmcnt(5)
	v_pk_mul_f32 v[70:71], v[48:49], v[10:11] op_sel:[0,1]
	v_mov_b32_e32 v72, v13
	v_pk_fma_f32 v[74:75], v[38:39], v[6:7], v[64:65] op_sel:[0,0,1] op_sel_hi:[1,1,0] neg_lo:[0,0,1] neg_hi:[0,0,1]
	v_pk_fma_f32 v[6:7], v[38:39], v[6:7], v[64:65] op_sel:[0,0,1] op_sel_hi:[1,0,0]
	v_pk_fma_f32 v[64:65], v[60:61], v[30:31], v[68:69] op_sel:[0,0,1] op_sel_hi:[1,1,0] neg_lo:[0,0,1] neg_hi:[0,0,1]
	v_pk_fma_f32 v[30:31], v[60:61], v[30:31], v[68:69] op_sel:[0,0,1] op_sel_hi:[1,0,0]
	;; [unrolled: 2-line block ×3, first 2 shown]
	v_pk_mul_f32 v[48:49], v[52:53], v[72:73] op_sel_hi:[1,0]
	v_mov_b32_e32 v61, v11
	v_pk_fma_f32 v[10:11], v[52:53], v[12:13], v[48:49] op_sel:[0,0,1] op_sel_hi:[1,1,0] neg_lo:[0,0,1] neg_hi:[0,0,1]
	v_pk_fma_f32 v[12:13], v[52:53], v[12:13], v[48:49] op_sel:[0,0,1] op_sel_hi:[1,0,0]
	v_pk_mul_f32 v[38:39], v[42:43], v[66:67] op_sel_hi:[1,0]
	v_mov_b32_e32 v11, v13
	s_waitcnt vmcnt(4)
	v_pk_mul_f32 v[12:13], v[56:57], v[32:33] op_sel:[0,1]
	v_mov_b32_e32 v75, v7
	v_pk_fma_f32 v[6:7], v[42:43], v[8:9], v[38:39] op_sel:[0,0,1] op_sel_hi:[1,1,0] neg_lo:[0,0,1] neg_hi:[0,0,1]
	v_pk_fma_f32 v[8:9], v[42:43], v[8:9], v[38:39] op_sel:[0,0,1] op_sel_hi:[1,0,0]
	v_pk_fma_f32 v[38:39], v[56:57], v[32:33], v[12:13] op_sel:[0,0,1] op_sel_hi:[1,1,0] neg_lo:[0,0,1] neg_hi:[0,0,1]
	v_pk_fma_f32 v[12:13], v[56:57], v[32:33], v[12:13] op_sel:[0,0,1] op_sel_hi:[1,0,0]
	v_pk_add_f32 v[10:11], v[20:21], v[10:11] neg_lo:[0,1] neg_hi:[0,1]
	v_mov_b32_e32 v39, v13
	v_pk_fma_f32 v[12:13], v[20:21], 2.0, v[10:11] op_sel_hi:[1,0,1] neg_lo:[0,0,1] neg_hi:[0,0,1]
	v_pk_add_f32 v[20:21], v[60:61], v[38:39] neg_lo:[0,1] neg_hi:[0,1]
	s_waitcnt vmcnt(3)
	v_pk_mul_f32 v[38:39], v[46:47], v[14:15] op_sel:[0,1]
	v_pk_fma_f32 v[32:33], v[60:61], 2.0, v[20:21] op_sel_hi:[1,0,1] neg_lo:[0,0,1] neg_hi:[0,0,1]
	v_pk_fma_f32 v[42:43], v[46:47], v[14:15], v[38:39] op_sel:[0,0,1] op_sel_hi:[1,1,0] neg_lo:[0,0,1] neg_hi:[0,0,1]
	v_pk_fma_f32 v[14:15], v[46:47], v[14:15], v[38:39] op_sel:[0,0,1] op_sel_hi:[1,0,0]
	v_mov_b32_e32 v65, v31
	v_mov_b32_e32 v14, v17
	;; [unrolled: 1-line block ×3, first 2 shown]
	v_pk_mul_f32 v[14:15], v[50:51], v[14:15] op_sel_hi:[1,0]
	v_mov_b32_e32 v7, v9
	v_pk_fma_f32 v[38:39], v[50:51], v[16:17], v[14:15] op_sel:[0,0,1] op_sel_hi:[1,1,0] neg_lo:[0,0,1] neg_hi:[0,0,1]
	v_pk_fma_f32 v[14:15], v[50:51], v[16:17], v[14:15] op_sel:[0,0,1] op_sel_hi:[1,0,0]
	v_pk_add_f32 v[32:33], v[12:13], v[32:33] neg_lo:[0,1] neg_hi:[0,1]
	v_mov_b32_e32 v39, v15
	s_waitcnt vmcnt(2)
	v_pk_mul_f32 v[14:15], v[54:55], v[36:37] op_sel:[0,1]
	v_pk_add_f32 v[8:9], v[74:75], v[64:65] neg_lo:[0,1] neg_hi:[0,1]
	v_pk_fma_f32 v[16:17], v[54:55], v[36:37], v[14:15] op_sel:[0,0,1] op_sel_hi:[1,1,0] neg_lo:[0,0,1] neg_hi:[0,0,1]
	v_pk_fma_f32 v[14:15], v[54:55], v[36:37], v[14:15] op_sel:[0,0,1] op_sel_hi:[1,0,0]
	v_pk_add_f32 v[6:7], v[26:27], v[6:7] neg_lo:[0,1] neg_hi:[0,1]
	v_mov_b32_e32 v17, v15
	v_pk_add_f32 v[14:15], v[18:19], v[38:39] neg_lo:[0,1] neg_hi:[0,1]
	v_pk_add_f32 v[16:17], v[42:43], v[16:17] neg_lo:[0,1] neg_hi:[0,1]
	s_waitcnt vmcnt(0)
	v_pk_mul_f32 v[38:39], v[22:23], v[28:29] op_sel:[0,1]
	v_pk_fma_f32 v[36:37], v[42:43], 2.0, v[16:17] op_sel_hi:[1,0,1] neg_lo:[0,0,1] neg_hi:[0,0,1]
	v_pk_fma_f32 v[42:43], v[22:23], v[28:29], v[38:39] op_sel:[0,0,1] op_sel_hi:[1,1,0] neg_lo:[0,0,1] neg_hi:[0,0,1]
	v_pk_fma_f32 v[22:23], v[22:23], v[28:29], v[38:39] op_sel:[0,0,1] op_sel_hi:[1,0,0]
	v_pk_fma_f32 v[18:19], v[18:19], 2.0, v[14:15] op_sel_hi:[1,0,1] neg_lo:[0,0,1] neg_hi:[0,0,1]
	v_mov_b32_e32 v43, v23
	v_pk_mul_f32 v[22:23], v[24:25], v[40:41] op_sel:[0,1]
	v_pk_add_f32 v[36:37], v[18:19], v[36:37] neg_lo:[0,1] neg_hi:[0,1]
	v_pk_fma_f32 v[28:29], v[24:25], v[40:41], v[22:23] op_sel:[0,0,1] op_sel_hi:[1,1,0] neg_lo:[0,0,1] neg_hi:[0,0,1]
	v_pk_fma_f32 v[22:23], v[24:25], v[40:41], v[22:23] op_sel:[0,0,1] op_sel_hi:[1,0,0]
	v_pk_fma_f32 v[18:19], v[18:19], 2.0, v[36:37] op_sel_hi:[1,0,1] neg_lo:[0,0,1] neg_hi:[0,0,1]
	v_mov_b32_e32 v29, v23
	v_pk_mul_f32 v[22:23], v[58:59], v[44:45] op_sel:[0,1]
	v_pk_fma_f32 v[12:13], v[12:13], 2.0, v[32:33] op_sel_hi:[1,0,1] neg_lo:[0,0,1] neg_hi:[0,0,1]
	v_pk_fma_f32 v[24:25], v[58:59], v[44:45], v[22:23] op_sel:[0,0,1] op_sel_hi:[1,1,0] neg_lo:[0,0,1] neg_hi:[0,0,1]
	v_pk_fma_f32 v[22:23], v[58:59], v[44:45], v[22:23] op_sel:[0,0,1] op_sel_hi:[1,0,0]
	v_pk_fma_f32 v[30:31], v[74:75], 2.0, v[8:9] op_sel_hi:[1,0,1] neg_lo:[0,0,1] neg_hi:[0,0,1]
	v_mov_b32_e32 v25, v23
	v_pk_add_f32 v[22:23], v[62:63], v[28:29] neg_lo:[0,1] neg_hi:[0,1]
	v_pk_add_f32 v[24:25], v[42:43], v[24:25] neg_lo:[0,1] neg_hi:[0,1]
	v_pk_fma_f32 v[28:29], v[62:63], 2.0, v[22:23] op_sel_hi:[1,0,1] neg_lo:[0,0,1] neg_hi:[0,0,1]
	v_pk_fma_f32 v[38:39], v[42:43], 2.0, v[24:25] op_sel_hi:[1,0,1] neg_lo:[0,0,1] neg_hi:[0,0,1]
	v_pk_add_f32 v[40:41], v[22:23], v[24:25] op_sel:[0,1] op_sel_hi:[1,0] neg_lo:[0,1] neg_hi:[0,1]
	v_pk_add_f32 v[24:25], v[22:23], v[24:25] op_sel:[0,1] op_sel_hi:[1,0]
	v_pk_add_f32 v[38:39], v[28:29], v[38:39] neg_lo:[0,1] neg_hi:[0,1]
	v_mov_b32_e32 v41, v25
	v_pk_fma_f32 v[28:29], v[28:29], 2.0, v[38:39] op_sel_hi:[1,0,1] neg_lo:[0,0,1] neg_hi:[0,0,1]
	v_pk_fma_f32 v[22:23], v[22:23], 2.0, v[40:41] op_sel_hi:[1,0,1] neg_lo:[0,0,1] neg_hi:[0,0,1]
	ds_write2_b64 v78, v[28:29], v[22:23] offset1:17
	ds_write2_b64 v78, v[38:39], v[40:41] offset0:34 offset1:51
	v_pk_add_f32 v[22:23], v[14:15], v[16:17] op_sel:[0,1] op_sel_hi:[1,0] neg_lo:[0,1] neg_hi:[0,1]
	v_pk_add_f32 v[16:17], v[14:15], v[16:17] op_sel:[0,1] op_sel_hi:[1,0]
	v_pk_fma_f32 v[26:27], v[26:27], 2.0, v[6:7] op_sel_hi:[1,0,1] neg_lo:[0,0,1] neg_hi:[0,0,1]
	v_mov_b32_e32 v23, v17
	v_pk_fma_f32 v[14:15], v[14:15], 2.0, v[22:23] op_sel_hi:[1,0,1] neg_lo:[0,0,1] neg_hi:[0,0,1]
	ds_write2_b64 v79, v[18:19], v[14:15] offset1:17
	ds_write2_b64 v79, v[36:37], v[22:23] offset0:34 offset1:51
	v_pk_add_f32 v[14:15], v[10:11], v[20:21] op_sel:[0,1] op_sel_hi:[1,0] neg_lo:[0,1] neg_hi:[0,1]
	v_pk_add_f32 v[16:17], v[10:11], v[20:21] op_sel:[0,1] op_sel_hi:[1,0]
	v_pk_add_f32 v[30:31], v[26:27], v[30:31] neg_lo:[0,1] neg_hi:[0,1]
	v_mov_b32_e32 v15, v17
	v_pk_fma_f32 v[10:11], v[10:11], 2.0, v[14:15] op_sel_hi:[1,0,1] neg_lo:[0,0,1] neg_hi:[0,0,1]
	ds_write2_b64 v80, v[12:13], v[10:11] offset1:17
	ds_write2_b64 v80, v[32:33], v[14:15] offset0:34 offset1:51
	v_pk_add_f32 v[10:11], v[6:7], v[8:9] op_sel:[0,1] op_sel_hi:[1,0] neg_lo:[0,1] neg_hi:[0,1]
	v_pk_add_f32 v[8:9], v[6:7], v[8:9] op_sel:[0,1] op_sel_hi:[1,0]
	v_pk_fma_f32 v[26:27], v[26:27], 2.0, v[30:31] op_sel_hi:[1,0,1] neg_lo:[0,0,1] neg_hi:[0,0,1]
	v_mov_b32_e32 v11, v9
	v_pk_fma_f32 v[6:7], v[6:7], 2.0, v[10:11] op_sel_hi:[1,0,1] neg_lo:[0,0,1] neg_hi:[0,0,1]
	ds_write2_b64 v81, v[26:27], v[6:7] offset1:17
	ds_write2_b64 v81, v[30:31], v[10:11] offset0:34 offset1:51
	v_mul_u32_u24_e32 v6, 3, v34
	v_lshlrev_b32_e32 v10, 3, v6
	s_waitcnt lgkmcnt(0)
	s_barrier
	global_load_dwordx4 v[6:9], v10, s[4:5] offset:408
	global_load_dwordx2 v[30:31], v10, s[4:5] offset:424
	v_lshrrev_b32_e32 v10, 22, v77
	v_mul_lo_u16_e32 v10, 0x44, v10
	v_sub_u16_e32 v54, v67, v10
	v_mul_u32_u24_e32 v10, 3, v54
	v_lshlrev_b32_e32 v14, 3, v10
	global_load_dwordx4 v[10:13], v14, s[4:5] offset:408
	global_load_dwordx2 v[32:33], v14, s[4:5] offset:424
	v_mul_lo_u16_sdwa v14, v76, s2 dst_sel:DWORD dst_unused:UNUSED_PAD src0_sel:BYTE_0 src1_sel:DWORD
	v_lshrrev_b16_e32 v14, 13, v14
	v_mul_lo_u16_e32 v14, 0x44, v14
	v_sub_u16_e32 v55, v76, v14
	v_mul_u32_u24_sdwa v14, v55, v73 dst_sel:DWORD dst_unused:UNUSED_PAD src0_sel:BYTE_0 src1_sel:DWORD
	v_lshlrev_b32_e32 v18, 3, v14
	global_load_dwordx4 v[14:17], v18, s[4:5] offset:408
	global_load_dwordx2 v[36:37], v18, s[4:5] offset:424
	ds_read2_b64 v[18:21], v0 offset0:76 offset1:144
	ds_read2_b64 v[22:25], v3 offset0:92 offset1:160
	;; [unrolled: 1-line block ×4, first 2 shown]
	ds_read2_b32 v[42:43], v5 offset0:200 offset1:201
	ds_read_b64 v[44:45], v201
	s_movk_i32 s2, 0x1000
	s_waitcnt vmcnt(5) lgkmcnt(5)
	v_pk_mul_f32 v[46:47], v[6:7], v[20:21] op_sel:[0,1]
	s_nop 0
	v_pk_fma_f32 v[48:49], v[6:7], v[20:21], v[46:47] op_sel:[0,0,1] op_sel_hi:[1,1,0] neg_lo:[0,0,1] neg_hi:[0,0,1]
	v_pk_fma_f32 v[20:21], v[6:7], v[20:21], v[46:47] op_sel:[0,0,1] op_sel_hi:[1,0,0]
	s_waitcnt lgkmcnt(2)
	v_pk_mul_f32 v[50:51], v[6:7], v[38:39] op_sel:[0,1]
	v_mov_b32_e32 v49, v21
	v_pk_mul_f32 v[20:21], v[8:9], v[24:25] op_sel:[0,1]
	v_pk_fma_f32 v[52:53], v[6:7], v[38:39], v[50:51] op_sel:[0,0,1] op_sel_hi:[1,1,0] neg_lo:[0,0,1] neg_hi:[0,0,1]
	v_pk_fma_f32 v[46:47], v[8:9], v[24:25], v[20:21] op_sel:[0,0,1] op_sel_hi:[1,1,0] neg_lo:[0,0,1] neg_hi:[0,0,1]
	v_pk_fma_f32 v[20:21], v[8:9], v[24:25], v[20:21] op_sel:[0,0,1] op_sel_hi:[1,0,0]
	v_pk_fma_f32 v[6:7], v[6:7], v[38:39], v[50:51] op_sel:[0,0,1] op_sel_hi:[1,0,0]
	v_mov_b32_e32 v47, v21
	s_waitcnt vmcnt(4)
	v_pk_mul_f32 v[20:21], v[30:31], v[26:27] op_sel:[0,1]
	s_waitcnt lgkmcnt(1)
	v_mov_b32_e32 v6, v43
	v_pk_fma_f32 v[24:25], v[30:31], v[26:27], v[20:21] op_sel:[0,0,1] op_sel_hi:[1,1,0] neg_lo:[0,0,1] neg_hi:[0,0,1]
	v_pk_fma_f32 v[20:21], v[30:31], v[26:27], v[20:21] op_sel:[0,0,1] op_sel_hi:[1,0,0]
	v_mov_b32_e32 v53, v7
	v_mov_b32_e32 v25, v21
	s_waitcnt lgkmcnt(0)
	v_pk_add_f32 v[20:21], v[44:45], v[46:47] neg_lo:[0,1] neg_hi:[0,1]
	v_pk_add_f32 v[24:25], v[48:49], v[24:25] neg_lo:[0,1] neg_hi:[0,1]
	v_pk_fma_f32 v[26:27], v[44:45], 2.0, v[20:21] op_sel_hi:[1,0,1] neg_lo:[0,0,1] neg_hi:[0,0,1]
	v_pk_fma_f32 v[44:45], v[48:49], 2.0, v[24:25] op_sel_hi:[1,0,1] neg_lo:[0,0,1] neg_hi:[0,0,1]
	v_pk_add_f32 v[48:49], v[20:21], v[24:25] op_sel:[0,1] op_sel_hi:[1,0] neg_lo:[0,1] neg_hi:[0,1]
	v_pk_add_f32 v[44:45], v[26:27], v[44:45] neg_lo:[0,1] neg_hi:[0,1]
	v_pk_add_f32 v[24:25], v[20:21], v[24:25] op_sel:[0,1] op_sel_hi:[1,0]
	v_pk_fma_f32 v[46:47], v[26:27], 2.0, v[44:45] op_sel_hi:[1,0,1] neg_lo:[0,0,1] neg_hi:[0,0,1]
	v_mov_b32_e32 v49, v25
	ds_read2_b64 v[24:27], v200 offset0:68 offset1:136
	v_pk_mul_f32 v[6:7], v[6:7], v[8:9] op_sel_hi:[0,1]
	v_pk_fma_f32 v[38:39], v[8:9], v[42:43], v[6:7] op_sel:[0,0,1] op_sel_hi:[1,1,0] neg_lo:[0,0,1] neg_hi:[0,0,1]
	v_pk_fma_f32 v[6:7], v[8:9], v[42:43], v[6:7] op_sel:[0,0,1] op_sel_hi:[1,0,0]
	v_pk_fma_f32 v[20:21], v[20:21], 2.0, v[48:49] op_sel_hi:[1,0,1] neg_lo:[0,0,1] neg_hi:[0,0,1]
	v_mov_b32_e32 v39, v7
	v_pk_mul_f32 v[6:7], v[28:29], v[30:31] op_sel:[0,1]
	s_nop 0
	v_pk_fma_f32 v[8:9], v[28:29], v[30:31], v[6:7] op_sel:[0,0,1] op_sel_hi:[1,1,0] neg_lo:[0,0,1] neg_hi:[0,0,1]
	v_pk_fma_f32 v[6:7], v[28:29], v[30:31], v[6:7] op_sel:[0,0,1] op_sel_hi:[1,0,0]
	s_nop 0
	v_mov_b32_e32 v9, v7
	s_waitcnt lgkmcnt(0)
	v_pk_add_f32 v[6:7], v[24:25], v[38:39] neg_lo:[0,1] neg_hi:[0,1]
	v_pk_add_f32 v[8:9], v[52:53], v[8:9] neg_lo:[0,1] neg_hi:[0,1]
	v_pk_fma_f32 v[24:25], v[24:25], 2.0, v[6:7] op_sel_hi:[1,0,1] neg_lo:[0,0,1] neg_hi:[0,0,1]
	v_pk_fma_f32 v[28:29], v[52:53], 2.0, v[8:9] op_sel_hi:[1,0,1] neg_lo:[0,0,1] neg_hi:[0,0,1]
	v_pk_add_f32 v[42:43], v[6:7], v[8:9] op_sel:[0,1] op_sel_hi:[1,0] neg_lo:[0,1] neg_hi:[0,1]
	v_pk_add_f32 v[8:9], v[6:7], v[8:9] op_sel:[0,1] op_sel_hi:[1,0]
	v_pk_add_f32 v[38:39], v[24:25], v[28:29] neg_lo:[0,1] neg_hi:[0,1]
	v_mov_b32_e32 v43, v9
	v_pk_fma_f32 v[50:51], v[6:7], 2.0, v[42:43] op_sel_hi:[1,0,1] neg_lo:[0,0,1] neg_hi:[0,0,1]
	v_lshlrev_b32_sdwa v6, v73, v55 dst_sel:DWORD dst_unused:UNUSED_PAD src0_sel:DWORD src1_sel:BYTE_0
	v_add3_u32 v56, 0, v6, v85
	v_lshlrev_b32_e32 v6, 3, v54
	v_add3_u32 v57, 0, v6, v85
	ds_read2_b64 v[6:9], v5 offset0:168 offset1:236
	ds_read2_b64 v[28:31], v4 offset0:184 offset1:252
	s_waitcnt vmcnt(3)
	v_pk_mul_f32 v[52:53], v[22:23], v[10:11] op_sel:[0,1]
	v_pk_fma_f32 v[24:25], v[24:25], 2.0, v[38:39] op_sel_hi:[1,0,1] neg_lo:[0,0,1] neg_hi:[0,0,1]
	v_pk_fma_f32 v[54:55], v[22:23], v[10:11], v[52:53] op_sel:[0,0,1] op_sel_hi:[1,1,0] neg_lo:[0,0,1] neg_hi:[0,0,1]
	v_pk_fma_f32 v[10:11], v[22:23], v[10:11], v[52:53] op_sel:[0,0,1] op_sel_hi:[1,0,0]
	s_waitcnt lgkmcnt(0)
	v_mov_b32_e32 v10, v13
	v_mov_b32_e32 v55, v11
	v_pk_mul_f32 v[10:11], v[8:9], v[10:11] op_sel_hi:[1,0]
	s_barrier
	v_pk_fma_f32 v[22:23], v[8:9], v[12:13], v[10:11] op_sel:[0,0,1] op_sel_hi:[1,1,0] neg_lo:[0,0,1] neg_hi:[0,0,1]
	v_pk_fma_f32 v[8:9], v[8:9], v[12:13], v[10:11] op_sel:[0,0,1] op_sel_hi:[1,0,0]
	s_nop 0
	v_mov_b32_e32 v23, v9
	s_waitcnt vmcnt(2)
	v_pk_mul_f32 v[8:9], v[30:31], v[32:33] op_sel:[0,1]
	ds_write2_b64 v200, v[46:47], v[20:21] offset1:68
	ds_write2_b64 v200, v[44:45], v[48:49] offset0:136 offset1:204
	ds_write2_b64 v1, v[24:25], v[50:51] offset0:16 offset1:84
	;; [unrolled: 1-line block ×3, first 2 shown]
	v_pk_fma_f32 v[10:11], v[30:31], v[32:33], v[8:9] op_sel:[0,0,1] op_sel_hi:[1,1,0] neg_lo:[0,0,1] neg_hi:[0,0,1]
	v_pk_fma_f32 v[8:9], v[30:31], v[32:33], v[8:9] op_sel:[0,0,1] op_sel_hi:[1,0,0]
	s_nop 0
	v_mov_b32_e32 v11, v9
	v_pk_add_f32 v[8:9], v[18:19], v[22:23] neg_lo:[0,1] neg_hi:[0,1]
	s_waitcnt vmcnt(1)
	v_pk_mul_f32 v[22:23], v[40:41], v[14:15] op_sel:[0,1]
	v_pk_add_f32 v[10:11], v[54:55], v[10:11] neg_lo:[0,1] neg_hi:[0,1]
	v_pk_fma_f32 v[30:31], v[40:41], v[14:15], v[22:23] op_sel:[0,0,1] op_sel_hi:[1,1,0] neg_lo:[0,0,1] neg_hi:[0,0,1]
	v_pk_fma_f32 v[14:15], v[40:41], v[14:15], v[22:23] op_sel:[0,0,1] op_sel_hi:[1,0,0]
	v_pk_fma_f32 v[12:13], v[18:19], 2.0, v[8:9] op_sel_hi:[1,0,1] neg_lo:[0,0,1] neg_hi:[0,0,1]
	v_mov_b32_e32 v14, v17
	v_mov_b32_e32 v31, v15
	v_pk_mul_f32 v[14:15], v[6:7], v[14:15] op_sel_hi:[1,0]
	v_pk_fma_f32 v[18:19], v[54:55], 2.0, v[10:11] op_sel_hi:[1,0,1] neg_lo:[0,0,1] neg_hi:[0,0,1]
	v_pk_fma_f32 v[22:23], v[6:7], v[16:17], v[14:15] op_sel:[0,0,1] op_sel_hi:[1,1,0] neg_lo:[0,0,1] neg_hi:[0,0,1]
	v_pk_fma_f32 v[6:7], v[6:7], v[16:17], v[14:15] op_sel:[0,0,1] op_sel_hi:[1,0,0]
	v_pk_add_f32 v[18:19], v[12:13], v[18:19] neg_lo:[0,1] neg_hi:[0,1]
	v_mov_b32_e32 v23, v7
	s_waitcnt vmcnt(0)
	v_pk_mul_f32 v[6:7], v[28:29], v[36:37] op_sel:[0,1]
	v_pk_fma_f32 v[12:13], v[12:13], 2.0, v[18:19] op_sel_hi:[1,0,1] neg_lo:[0,0,1] neg_hi:[0,0,1]
	v_pk_fma_f32 v[14:15], v[28:29], v[36:37], v[6:7] op_sel:[0,0,1] op_sel_hi:[1,1,0] neg_lo:[0,0,1] neg_hi:[0,0,1]
	v_pk_fma_f32 v[6:7], v[28:29], v[36:37], v[6:7] op_sel:[0,0,1] op_sel_hi:[1,0,0]
	s_nop 0
	v_mov_b32_e32 v15, v7
	v_pk_add_f32 v[6:7], v[26:27], v[22:23] neg_lo:[0,1] neg_hi:[0,1]
	v_pk_add_f32 v[14:15], v[30:31], v[14:15] neg_lo:[0,1] neg_hi:[0,1]
	v_pk_fma_f32 v[16:17], v[26:27], 2.0, v[6:7] op_sel_hi:[1,0,1] neg_lo:[0,0,1] neg_hi:[0,0,1]
	v_pk_fma_f32 v[22:23], v[30:31], 2.0, v[14:15] op_sel_hi:[1,0,1] neg_lo:[0,0,1] neg_hi:[0,0,1]
	v_pk_add_f32 v[20:21], v[6:7], v[14:15] op_sel:[0,1] op_sel_hi:[1,0] neg_lo:[0,1] neg_hi:[0,1]
	v_pk_add_f32 v[14:15], v[6:7], v[14:15] op_sel:[0,1] op_sel_hi:[1,0]
	v_pk_add_f32 v[22:23], v[16:17], v[22:23] neg_lo:[0,1] neg_hi:[0,1]
	v_mov_b32_e32 v21, v15
	v_pk_fma_f32 v[16:17], v[16:17], 2.0, v[22:23] op_sel_hi:[1,0,1] neg_lo:[0,0,1] neg_hi:[0,0,1]
	v_pk_fma_f32 v[6:7], v[6:7], 2.0, v[20:21] op_sel_hi:[1,0,1] neg_lo:[0,0,1] neg_hi:[0,0,1]
	v_add_u32_e32 v14, 0x1000, v56
	ds_write2_b64 v14, v[16:17], v[6:7] offset0:32 offset1:100
	ds_write2_b64 v14, v[22:23], v[20:21] offset0:168 offset1:236
	v_pk_add_f32 v[6:7], v[8:9], v[10:11] op_sel:[0,1] op_sel_hi:[1,0] neg_lo:[0,1] neg_hi:[0,1]
	v_pk_add_f32 v[10:11], v[8:9], v[10:11] op_sel:[0,1] op_sel_hi:[1,0]
	v_lshl_add_u64 v[22:23], v[86:87], 3, s[4:5]
	v_mov_b32_e32 v7, v11
	v_pk_fma_f32 v[8:9], v[8:9], 2.0, v[6:7] op_sel_hi:[1,0,1] neg_lo:[0,0,1] neg_hi:[0,0,1]
	v_add_u32_e32 v10, 0x1800, v57
	ds_write2_b64 v10, v[12:13], v[8:9] offset0:48 offset1:116
	ds_write2_b64 v10, v[18:19], v[6:7] offset0:184 offset1:252
	s_waitcnt lgkmcnt(0)
	s_barrier
	global_load_dwordx2 v[24:25], v[22:23], off offset:2040
	v_lshl_add_u64 v[26:27], v[34:35], 3, s[4:5]
	global_load_dwordx2 v[28:29], v[26:27], off offset:2584
	global_load_dwordx2 v[30:31], v[26:27], off offset:3128
	;; [unrolled: 1-line block ×3, first 2 shown]
	ds_read2_b64 v[6:9], v3 offset0:92 offset1:160
	ds_read2_b64 v[10:13], v5 offset0:100 offset1:168
	;; [unrolled: 1-line block ×3, first 2 shown]
	ds_read_b64 v[20:21], v201
	ds_read_b64 v[38:39], v200 offset:8160
	v_add_u32_e32 v35, v88, v85
	s_waitcnt vmcnt(3) lgkmcnt(4)
	v_pk_mul_f32 v[18:19], v[24:25], v[8:9] op_sel:[0,1]
	s_nop 0
	v_pk_fma_f32 v[36:37], v[24:25], v[8:9], v[18:19] op_sel:[0,0,1] op_sel_hi:[1,1,0] neg_lo:[0,0,1] neg_hi:[0,0,1]
	v_pk_fma_f32 v[8:9], v[24:25], v[8:9], v[18:19] op_sel:[0,0,1] op_sel_hi:[1,0,0]
	s_nop 0
	v_mov_b32_e32 v37, v9
	s_waitcnt lgkmcnt(1)
	v_pk_add_f32 v[36:37], v[20:21], v[36:37] neg_lo:[0,1] neg_hi:[0,1]
	s_waitcnt vmcnt(2)
	v_pk_mul_f32 v[8:9], v[28:29], v[10:11] op_sel:[0,1]
	v_pk_fma_f32 v[40:41], v[20:21], 2.0, v[36:37] op_sel_hi:[1,0,1] neg_lo:[0,0,1] neg_hi:[0,0,1]
	ds_read2_b64 v[18:21], v200 offset0:68 offset1:136
	v_pk_fma_f32 v[42:43], v[28:29], v[10:11], v[8:9] op_sel:[0,0,1] op_sel_hi:[1,1,0] neg_lo:[0,0,1] neg_hi:[0,0,1]
	v_pk_fma_f32 v[8:9], v[28:29], v[10:11], v[8:9] op_sel:[0,0,1] op_sel_hi:[1,0,0]
	s_nop 0
	v_mov_b32_e32 v43, v9
	s_waitcnt vmcnt(1)
	v_pk_mul_f32 v[8:9], v[30:31], v[12:13] op_sel:[0,1]
	s_waitcnt lgkmcnt(0)
	v_pk_add_f32 v[42:43], v[18:19], v[42:43] neg_lo:[0,1] neg_hi:[0,1]
	v_pk_fma_f32 v[10:11], v[30:31], v[12:13], v[8:9] op_sel:[0,0,1] op_sel_hi:[1,1,0] neg_lo:[0,0,1] neg_hi:[0,0,1]
	v_pk_fma_f32 v[8:9], v[30:31], v[12:13], v[8:9] op_sel:[0,0,1] op_sel_hi:[1,0,0]
	s_waitcnt vmcnt(0)
	v_pk_mul_f32 v[12:13], v[32:33], v[14:15] op_sel:[0,1]
	v_mov_b32_e32 v11, v9
	v_pk_add_f32 v[44:45], v[20:21], v[10:11] neg_lo:[0,1] neg_hi:[0,1]
	ds_read2_b64 v[8:11], v0 offset0:76 offset1:144
	v_pk_fma_f32 v[46:47], v[32:33], v[14:15], v[12:13] op_sel:[0,0,1] op_sel_hi:[1,1,0] neg_lo:[0,0,1] neg_hi:[0,0,1]
	v_pk_fma_f32 v[12:13], v[32:33], v[14:15], v[12:13] op_sel:[0,0,1] op_sel_hi:[1,0,0]
	v_pk_fma_f32 v[18:19], v[18:19], 2.0, v[42:43] op_sel_hi:[1,0,1] neg_lo:[0,0,1] neg_hi:[0,0,1]
	v_mov_b32_e32 v47, v13
	s_waitcnt lgkmcnt(0)
	v_pk_add_f32 v[46:47], v[8:9], v[46:47] neg_lo:[0,1] neg_hi:[0,1]
	ds_read2_b64 v[12:15], v4 offset0:116 offset1:184
	v_pk_fma_f32 v[48:49], v[8:9], 2.0, v[46:47] op_sel_hi:[1,0,1] neg_lo:[0,0,1] neg_hi:[0,0,1]
	v_pk_mul_f32 v[8:9], v[16:17], v[24:25] op_sel:[0,1]
	v_pk_fma_f32 v[20:21], v[20:21], 2.0, v[44:45] op_sel_hi:[1,0,1] neg_lo:[0,0,1] neg_hi:[0,0,1]
	v_pk_fma_f32 v[50:51], v[16:17], v[24:25], v[8:9] op_sel:[0,0,1] op_sel_hi:[1,1,0] neg_lo:[0,0,1] neg_hi:[0,0,1]
	v_pk_fma_f32 v[8:9], v[16:17], v[24:25], v[8:9] op_sel:[0,0,1] op_sel_hi:[1,0,0]
	s_nop 0
	v_mov_b32_e32 v51, v9
	v_pk_add_f32 v[16:17], v[10:11], v[50:51] neg_lo:[0,1] neg_hi:[0,1]
	s_waitcnt lgkmcnt(0)
	v_pk_mul_f32 v[50:51], v[12:13], v[28:29] op_sel:[0,1]
	v_pk_fma_f32 v[24:25], v[10:11], 2.0, v[16:17] op_sel_hi:[1,0,1] neg_lo:[0,0,1] neg_hi:[0,0,1]
	ds_read2_b64 v[8:11], v1 offset0:84 offset1:152
	v_pk_fma_f32 v[52:53], v[12:13], v[28:29], v[50:51] op_sel:[0,0,1] op_sel_hi:[1,1,0] neg_lo:[0,0,1] neg_hi:[0,0,1]
	v_pk_fma_f32 v[12:13], v[12:13], v[28:29], v[50:51] op_sel:[0,0,1] op_sel_hi:[1,0,0]
	v_pk_mul_f32 v[28:29], v[14:15], v[30:31] op_sel:[0,1]
	v_mov_b32_e32 v53, v13
	v_pk_fma_f32 v[50:51], v[14:15], v[30:31], v[28:29] op_sel:[0,0,1] op_sel_hi:[1,1,0] neg_lo:[0,0,1] neg_hi:[0,0,1]
	v_pk_fma_f32 v[14:15], v[14:15], v[30:31], v[28:29] op_sel:[0,0,1] op_sel_hi:[1,0,0]
	v_pk_mul_f32 v[28:29], v[38:39], v[32:33] op_sel:[0,1]
	s_waitcnt lgkmcnt(0)
	v_pk_add_f32 v[12:13], v[8:9], v[52:53] neg_lo:[0,1] neg_hi:[0,1]
	v_pk_fma_f32 v[30:31], v[38:39], v[32:33], v[28:29] op_sel:[0,0,1] op_sel_hi:[1,1,0] neg_lo:[0,0,1] neg_hi:[0,0,1]
	v_pk_fma_f32 v[28:29], v[38:39], v[32:33], v[28:29] op_sel:[0,0,1] op_sel_hi:[1,0,0]
	v_mov_b32_e32 v51, v15
	v_mov_b32_e32 v31, v29
	s_barrier
	ds_write_b64 v200, v[36:37] offset:2176
	ds_write2_b64 v200, v[40:41], v[18:19] offset1:68
	v_add_u32_e32 v18, 0x800, v35
	v_pk_fma_f32 v[8:9], v[8:9], 2.0, v[12:13] op_sel_hi:[1,0,1] neg_lo:[0,0,1] neg_hi:[0,0,1]
	v_pk_add_f32 v[14:15], v[10:11], v[50:51] neg_lo:[0,1] neg_hi:[0,1]
	v_pk_add_f32 v[28:29], v[6:7], v[30:31] neg_lo:[0,1] neg_hi:[0,1]
	ds_write2_b64 v18, v[42:43], v[44:45] offset0:84 offset1:152
	ds_write2_b64 v200, v[20:21], v[48:49] offset0:136 offset1:204
	ds_write_b64 v200, v[24:25] offset:4352
	ds_write_b64 v200, v[16:17] offset:6528
	v_add_u32_e32 v16, 0xc00, v35
	v_pk_fma_f32 v[10:11], v[10:11], 2.0, v[14:15] op_sel_hi:[1,0,1] neg_lo:[0,0,1] neg_hi:[0,0,1]
	v_pk_fma_f32 v[6:7], v[6:7], 2.0, v[28:29] op_sel_hi:[1,0,1] neg_lo:[0,0,1] neg_hi:[0,0,1]
	ds_write2_b64 v16, v[46:47], v[8:9] offset0:92 offset1:228
	v_add_u32_e32 v46, 0x1800, v35
	v_add_u32_e32 v47, 0x1000, v35
	ds_write2_b64 v46, v[12:13], v[14:15] offset0:116 offset1:184
	ds_write2_b64 v47, v[10:11], v[6:7] offset0:168 offset1:236
	ds_write_b64 v35, v[28:29] offset:8160
	v_add_co_u32_e32 v6, vcc, s2, v22
	s_waitcnt lgkmcnt(0)
	s_nop 0
	v_addc_co_u32_e32 v7, vcc, 0, v23, vcc
	s_barrier
	global_load_dwordx2 v[18:19], v[6:7], off offset:120
	v_add_co_u32_e32 v6, vcc, s2, v26
	s_nop 1
	v_addc_co_u32_e32 v7, vcc, 0, v27, vcc
	global_load_dwordx2 v[22:23], v[6:7], off offset:664
	global_load_dwordx2 v[24:25], v[6:7], off offset:1208
	;; [unrolled: 1-line block ×7, first 2 shown]
	ds_read2_b64 v[6:9], v3 offset0:92 offset1:160
	ds_read2_b64 v[10:13], v5 offset0:100 offset1:168
	;; [unrolled: 1-line block ×3, first 2 shown]
	ds_read_b64 v[20:21], v201
	ds_read_b64 v[40:41], v200 offset:8160
	s_waitcnt vmcnt(7) lgkmcnt(4)
	v_pk_mul_f32 v[2:3], v[18:19], v[8:9] op_sel:[0,1]
	s_nop 0
	v_pk_fma_f32 v[38:39], v[18:19], v[8:9], v[2:3] op_sel:[0,0,1] op_sel_hi:[1,1,0] neg_lo:[0,0,1] neg_hi:[0,0,1]
	v_pk_fma_f32 v[2:3], v[18:19], v[8:9], v[2:3] op_sel:[0,0,1] op_sel_hi:[1,0,0]
	s_nop 0
	v_mov_b32_e32 v39, v3
	s_waitcnt lgkmcnt(1)
	v_pk_add_f32 v[38:39], v[20:21], v[38:39] neg_lo:[0,1] neg_hi:[0,1]
	s_waitcnt vmcnt(6)
	v_pk_mul_f32 v[2:3], v[22:23], v[10:11] op_sel:[0,1]
	v_pk_fma_f32 v[42:43], v[20:21], 2.0, v[38:39] op_sel_hi:[1,0,1] neg_lo:[0,0,1] neg_hi:[0,0,1]
	ds_read2_b64 v[18:21], v200 offset0:68 offset1:136
	v_pk_fma_f32 v[8:9], v[22:23], v[10:11], v[2:3] op_sel:[0,0,1] op_sel_hi:[1,1,0] neg_lo:[0,0,1] neg_hi:[0,0,1]
	v_pk_fma_f32 v[2:3], v[22:23], v[10:11], v[2:3] op_sel:[0,0,1] op_sel_hi:[1,0,0]
	s_nop 0
	v_mov_b32_e32 v9, v3
	s_waitcnt vmcnt(5)
	v_pk_mul_f32 v[2:3], v[24:25], v[12:13] op_sel:[0,1]
	s_waitcnt lgkmcnt(0)
	v_pk_add_f32 v[22:23], v[18:19], v[8:9] neg_lo:[0,1] neg_hi:[0,1]
	v_pk_fma_f32 v[8:9], v[24:25], v[12:13], v[2:3] op_sel:[0,0,1] op_sel_hi:[1,1,0] neg_lo:[0,0,1] neg_hi:[0,0,1]
	v_pk_fma_f32 v[2:3], v[24:25], v[12:13], v[2:3] op_sel:[0,0,1] op_sel_hi:[1,0,0]
	v_pk_fma_f32 v[18:19], v[18:19], 2.0, v[22:23] op_sel_hi:[1,0,1] neg_lo:[0,0,1] neg_hi:[0,0,1]
	v_mov_b32_e32 v9, v3
	v_pk_add_f32 v[12:13], v[20:21], v[8:9] neg_lo:[0,1] neg_hi:[0,1]
	ds_read2_b64 v[8:11], v0 offset0:76 offset1:144
	s_waitcnt vmcnt(4)
	v_pk_mul_f32 v[2:3], v[26:27], v[14:15] op_sel:[0,1]
	v_add_u32_e32 v0, 0x1400, v35
	v_pk_fma_f32 v[24:25], v[26:27], v[14:15], v[2:3] op_sel:[0,0,1] op_sel_hi:[1,1,0] neg_lo:[0,0,1] neg_hi:[0,0,1]
	v_pk_fma_f32 v[2:3], v[26:27], v[14:15], v[2:3] op_sel:[0,0,1] op_sel_hi:[1,0,0]
	v_pk_fma_f32 v[20:21], v[20:21], 2.0, v[12:13] op_sel_hi:[1,0,1] neg_lo:[0,0,1] neg_hi:[0,0,1]
	v_mov_b32_e32 v25, v3
	s_waitcnt lgkmcnt(0)
	v_pk_add_f32 v[14:15], v[8:9], v[24:25] neg_lo:[0,1] neg_hi:[0,1]
	s_waitcnt vmcnt(3)
	v_pk_mul_f32 v[2:3], v[16:17], v[28:29] op_sel:[0,1]
	v_pk_fma_f32 v[24:25], v[8:9], 2.0, v[14:15] op_sel_hi:[1,0,1] neg_lo:[0,0,1] neg_hi:[0,0,1]
	v_pk_fma_f32 v[8:9], v[16:17], v[28:29], v[2:3] op_sel:[0,0,1] op_sel_hi:[1,1,0] neg_lo:[0,0,1] neg_hi:[0,0,1]
	v_pk_fma_f32 v[16:17], v[16:17], v[28:29], v[2:3] op_sel:[0,0,1] op_sel_hi:[1,0,0]
	ds_read2_b64 v[2:5], v4 offset0:116 offset1:184
	v_mov_b32_e32 v9, v17
	v_pk_add_f32 v[16:17], v[10:11], v[8:9] neg_lo:[0,1] neg_hi:[0,1]
	s_waitcnt vmcnt(2) lgkmcnt(0)
	v_pk_mul_f32 v[28:29], v[2:3], v[30:31] op_sel:[0,1]
	v_pk_fma_f32 v[26:27], v[10:11], 2.0, v[16:17] op_sel_hi:[1,0,1] neg_lo:[0,0,1] neg_hi:[0,0,1]
	ds_read2_b64 v[8:11], v1 offset0:84 offset1:152
	v_pk_fma_f32 v[44:45], v[2:3], v[30:31], v[28:29] op_sel:[0,0,1] op_sel_hi:[1,1,0] neg_lo:[0,0,1] neg_hi:[0,0,1]
	v_pk_fma_f32 v[2:3], v[2:3], v[30:31], v[28:29] op_sel:[0,0,1] op_sel_hi:[1,0,0]
	s_waitcnt vmcnt(1)
	v_pk_mul_f32 v[28:29], v[4:5], v[32:33] op_sel:[0,1]
	v_mov_b32_e32 v45, v3
	v_pk_fma_f32 v[30:31], v[4:5], v[32:33], v[28:29] op_sel:[0,0,1] op_sel_hi:[1,1,0] neg_lo:[0,0,1] neg_hi:[0,0,1]
	v_pk_fma_f32 v[4:5], v[4:5], v[32:33], v[28:29] op_sel:[0,0,1] op_sel_hi:[1,0,0]
	s_waitcnt vmcnt(0)
	v_pk_mul_f32 v[28:29], v[40:41], v[36:37] op_sel:[0,1]
	v_mov_b32_e32 v31, v5
	s_waitcnt lgkmcnt(0)
	v_pk_add_f32 v[4:5], v[10:11], v[30:31] neg_lo:[0,1] neg_hi:[0,1]
	v_pk_fma_f32 v[30:31], v[40:41], v[36:37], v[28:29] op_sel:[0,0,1] op_sel_hi:[1,1,0] neg_lo:[0,0,1] neg_hi:[0,0,1]
	v_pk_fma_f32 v[28:29], v[40:41], v[36:37], v[28:29] op_sel:[0,0,1] op_sel_hi:[1,0,0]
	v_pk_add_f32 v[2:3], v[8:9], v[44:45] neg_lo:[0,1] neg_hi:[0,1]
	v_mov_b32_e32 v31, v29
	v_pk_add_f32 v[28:29], v[6:7], v[30:31] neg_lo:[0,1] neg_hi:[0,1]
	v_pk_fma_f32 v[8:9], v[8:9], 2.0, v[2:3] op_sel_hi:[1,0,1] neg_lo:[0,0,1] neg_hi:[0,0,1]
	v_pk_fma_f32 v[10:11], v[10:11], 2.0, v[4:5] op_sel_hi:[1,0,1] neg_lo:[0,0,1] neg_hi:[0,0,1]
	;; [unrolled: 1-line block ×3, first 2 shown]
	s_barrier
	ds_write_b64 v200, v[38:39] offset:4352
	ds_write2_b64 v200, v[42:43], v[18:19] offset1:68
	ds_write2_b64 v47, v[22:23], v[12:13] offset0:100 offset1:168
	ds_write2_b64 v200, v[20:21], v[24:25] offset0:136 offset1:204
	;; [unrolled: 1-line block ×6, first 2 shown]
	ds_write_b64 v35, v[28:29] offset:8160
	s_waitcnt lgkmcnt(0)
	s_barrier
	s_and_saveexec_b64 s[2:3], s[0:1]
	s_cbranch_execz .LBB0_20
; %bb.19:
	v_lshl_add_u32 v8, v34, 3, v84
	ds_read2_b64 v[0:3], v8 offset1:68
	v_mov_b32_e32 v35, 0
	v_add_u32_e32 v4, 0x44, v34
	v_lshl_add_u64 v[6:7], v[34:35], 3, v[82:83]
	v_mov_b32_e32 v5, v35
	s_waitcnt lgkmcnt(0)
	global_store_dwordx2 v[6:7], v[0:1], off
	v_lshl_add_u64 v[0:1], v[4:5], 3, v[82:83]
	ds_read2_b64 v[4:7], v8 offset0:136 offset1:204
	global_store_dwordx2 v[0:1], v[2:3], off
	v_add_u32_e32 v0, 0x88, v34
	v_mov_b32_e32 v1, v35
	v_lshl_add_u64 v[0:1], v[0:1], 3, v[82:83]
	s_waitcnt lgkmcnt(0)
	global_store_dwordx2 v[0:1], v[4:5], off
	v_add_u32_e32 v0, 0xcc, v34
	v_mov_b32_e32 v1, v35
	v_add_u32_e32 v9, 0x800, v8
	v_lshl_add_u64 v[4:5], v[0:1], 3, v[82:83]
	ds_read2_b64 v[0:3], v9 offset0:16 offset1:84
	global_store_dwordx2 v[4:5], v[6:7], off
	v_add_u32_e32 v4, 0x110, v34
	v_mov_b32_e32 v5, v35
	v_lshl_add_u64 v[4:5], v[4:5], 3, v[82:83]
	s_waitcnt lgkmcnt(0)
	global_store_dwordx2 v[4:5], v[0:1], off
	ds_read2_b64 v[4:7], v9 offset0:152 offset1:220
	v_add_u32_e32 v0, 0x154, v34
	v_mov_b32_e32 v1, v35
	v_lshl_add_u64 v[0:1], v[0:1], 3, v[82:83]
	global_store_dwordx2 v[0:1], v[2:3], off
	v_add_u32_e32 v0, 0x198, v34
	v_mov_b32_e32 v1, v35
	v_lshl_add_u64 v[0:1], v[0:1], 3, v[82:83]
	s_waitcnt lgkmcnt(0)
	global_store_dwordx2 v[0:1], v[4:5], off
	v_add_u32_e32 v0, 0x1dc, v34
	v_mov_b32_e32 v1, v35
	v_add_u32_e32 v9, 0x1000, v8
	v_lshl_add_u64 v[4:5], v[0:1], 3, v[82:83]
	ds_read2_b64 v[0:3], v9 offset0:32 offset1:100
	global_store_dwordx2 v[4:5], v[6:7], off
	v_add_u32_e32 v4, 0x220, v34
	v_mov_b32_e32 v5, v35
	v_lshl_add_u64 v[4:5], v[4:5], 3, v[82:83]
	s_waitcnt lgkmcnt(0)
	global_store_dwordx2 v[4:5], v[0:1], off
	ds_read2_b64 v[4:7], v9 offset0:168 offset1:236
	v_add_u32_e32 v0, 0x264, v34
	v_mov_b32_e32 v1, v35
	v_lshl_add_u64 v[0:1], v[0:1], 3, v[82:83]
	;; [unrolled: 21-line block ×3, first 2 shown]
	global_store_dwordx2 v[0:1], v[2:3], off
	v_add_u32_e32 v0, 0x3b8, v34
	v_mov_b32_e32 v1, v35
	v_lshl_add_u64 v[0:1], v[0:1], 3, v[82:83]
	v_add_u32_e32 v34, 0x3fc, v34
	s_waitcnt lgkmcnt(0)
	global_store_dwordx2 v[0:1], v[4:5], off
	v_lshl_add_u64 v[0:1], v[34:35], 3, v[82:83]
	global_store_dwordx2 v[0:1], v[6:7], off
.LBB0_20:
	s_endpgm
	.section	.rodata,"a",@progbits
	.p2align	6, 0x0
	.amdhsa_kernel fft_rtc_fwd_len1088_factors_17_4_4_2_2_wgs_204_tpt_68_halfLds_sp_ip_CI_unitstride_sbrr_C2R_dirReg
		.amdhsa_group_segment_fixed_size 0
		.amdhsa_private_segment_fixed_size 0
		.amdhsa_kernarg_size 88
		.amdhsa_user_sgpr_count 2
		.amdhsa_user_sgpr_dispatch_ptr 0
		.amdhsa_user_sgpr_queue_ptr 0
		.amdhsa_user_sgpr_kernarg_segment_ptr 1
		.amdhsa_user_sgpr_dispatch_id 0
		.amdhsa_user_sgpr_kernarg_preload_length 0
		.amdhsa_user_sgpr_kernarg_preload_offset 0
		.amdhsa_user_sgpr_private_segment_size 0
		.amdhsa_uses_dynamic_stack 0
		.amdhsa_enable_private_segment 0
		.amdhsa_system_sgpr_workgroup_id_x 1
		.amdhsa_system_sgpr_workgroup_id_y 0
		.amdhsa_system_sgpr_workgroup_id_z 0
		.amdhsa_system_sgpr_workgroup_info 0
		.amdhsa_system_vgpr_workitem_id 0
		.amdhsa_next_free_vgpr 288
		.amdhsa_next_free_sgpr 66
		.amdhsa_accum_offset 256
		.amdhsa_reserve_vcc 1
		.amdhsa_float_round_mode_32 0
		.amdhsa_float_round_mode_16_64 0
		.amdhsa_float_denorm_mode_32 3
		.amdhsa_float_denorm_mode_16_64 3
		.amdhsa_dx10_clamp 1
		.amdhsa_ieee_mode 1
		.amdhsa_fp16_overflow 0
		.amdhsa_tg_split 0
		.amdhsa_exception_fp_ieee_invalid_op 0
		.amdhsa_exception_fp_denorm_src 0
		.amdhsa_exception_fp_ieee_div_zero 0
		.amdhsa_exception_fp_ieee_overflow 0
		.amdhsa_exception_fp_ieee_underflow 0
		.amdhsa_exception_fp_ieee_inexact 0
		.amdhsa_exception_int_div_zero 0
	.end_amdhsa_kernel
	.text
.Lfunc_end0:
	.size	fft_rtc_fwd_len1088_factors_17_4_4_2_2_wgs_204_tpt_68_halfLds_sp_ip_CI_unitstride_sbrr_C2R_dirReg, .Lfunc_end0-fft_rtc_fwd_len1088_factors_17_4_4_2_2_wgs_204_tpt_68_halfLds_sp_ip_CI_unitstride_sbrr_C2R_dirReg
                                        ; -- End function
	.section	.AMDGPU.csdata,"",@progbits
; Kernel info:
; codeLenInByte = 12120
; NumSgprs: 72
; NumVgprs: 256
; NumAgprs: 32
; TotalNumVgprs: 288
; ScratchSize: 0
; MemoryBound: 0
; FloatMode: 240
; IeeeMode: 1
; LDSByteSize: 0 bytes/workgroup (compile time only)
; SGPRBlocks: 8
; VGPRBlocks: 35
; NumSGPRsForWavesPerEU: 72
; NumVGPRsForWavesPerEU: 288
; AccumOffset: 256
; Occupancy: 1
; WaveLimiterHint : 1
; COMPUTE_PGM_RSRC2:SCRATCH_EN: 0
; COMPUTE_PGM_RSRC2:USER_SGPR: 2
; COMPUTE_PGM_RSRC2:TRAP_HANDLER: 0
; COMPUTE_PGM_RSRC2:TGID_X_EN: 1
; COMPUTE_PGM_RSRC2:TGID_Y_EN: 0
; COMPUTE_PGM_RSRC2:TGID_Z_EN: 0
; COMPUTE_PGM_RSRC2:TIDIG_COMP_CNT: 0
; COMPUTE_PGM_RSRC3_GFX90A:ACCUM_OFFSET: 63
; COMPUTE_PGM_RSRC3_GFX90A:TG_SPLIT: 0
	.text
	.p2alignl 6, 3212836864
	.fill 256, 4, 3212836864
	.type	__hip_cuid_8910aa7688af73d7,@object ; @__hip_cuid_8910aa7688af73d7
	.section	.bss,"aw",@nobits
	.globl	__hip_cuid_8910aa7688af73d7
__hip_cuid_8910aa7688af73d7:
	.byte	0                               ; 0x0
	.size	__hip_cuid_8910aa7688af73d7, 1

	.ident	"AMD clang version 19.0.0git (https://github.com/RadeonOpenCompute/llvm-project roc-6.4.0 25133 c7fe45cf4b819c5991fe208aaa96edf142730f1d)"
	.section	".note.GNU-stack","",@progbits
	.addrsig
	.addrsig_sym __hip_cuid_8910aa7688af73d7
	.amdgpu_metadata
---
amdhsa.kernels:
  - .agpr_count:     32
    .args:
      - .actual_access:  read_only
        .address_space:  global
        .offset:         0
        .size:           8
        .value_kind:     global_buffer
      - .offset:         8
        .size:           8
        .value_kind:     by_value
      - .actual_access:  read_only
        .address_space:  global
        .offset:         16
        .size:           8
        .value_kind:     global_buffer
      - .actual_access:  read_only
        .address_space:  global
        .offset:         24
        .size:           8
        .value_kind:     global_buffer
      - .offset:         32
        .size:           8
        .value_kind:     by_value
      - .actual_access:  read_only
        .address_space:  global
        .offset:         40
        .size:           8
        .value_kind:     global_buffer
      - .actual_access:  read_only
        .address_space:  global
        .offset:         48
        .size:           8
        .value_kind:     global_buffer
      - .offset:         56
        .size:           4
        .value_kind:     by_value
      - .actual_access:  read_only
        .address_space:  global
        .offset:         64
        .size:           8
        .value_kind:     global_buffer
      - .actual_access:  read_only
        .address_space:  global
        .offset:         72
        .size:           8
        .value_kind:     global_buffer
      - .address_space:  global
        .offset:         80
        .size:           8
        .value_kind:     global_buffer
    .group_segment_fixed_size: 0
    .kernarg_segment_align: 8
    .kernarg_segment_size: 88
    .language:       OpenCL C
    .language_version:
      - 2
      - 0
    .max_flat_workgroup_size: 204
    .name:           fft_rtc_fwd_len1088_factors_17_4_4_2_2_wgs_204_tpt_68_halfLds_sp_ip_CI_unitstride_sbrr_C2R_dirReg
    .private_segment_fixed_size: 0
    .sgpr_count:     72
    .sgpr_spill_count: 0
    .symbol:         fft_rtc_fwd_len1088_factors_17_4_4_2_2_wgs_204_tpt_68_halfLds_sp_ip_CI_unitstride_sbrr_C2R_dirReg.kd
    .uniform_work_group_size: 1
    .uses_dynamic_stack: false
    .vgpr_count:     288
    .vgpr_spill_count: 0
    .wavefront_size: 64
amdhsa.target:   amdgcn-amd-amdhsa--gfx950
amdhsa.version:
  - 1
  - 2
...

	.end_amdgpu_metadata
